;; amdgpu-corpus repo=ROCm/rocFFT kind=compiled arch=gfx1201 opt=O3
	.text
	.amdgcn_target "amdgcn-amd-amdhsa--gfx1201"
	.amdhsa_code_object_version 6
	.protected	bluestein_single_fwd_len272_dim1_dp_op_CI_CI ; -- Begin function bluestein_single_fwd_len272_dim1_dp_op_CI_CI
	.globl	bluestein_single_fwd_len272_dim1_dp_op_CI_CI
	.p2align	8
	.type	bluestein_single_fwd_len272_dim1_dp_op_CI_CI,@function
bluestein_single_fwd_len272_dim1_dp_op_CI_CI: ; @bluestein_single_fwd_len272_dim1_dp_op_CI_CI
; %bb.0:
	s_load_b128 s[16:19], s[0:1], 0x28
	v_mul_u32_u24_e32 v1, 0xf10, v0
	s_mov_b32 s2, exec_lo
	s_delay_alu instid0(VALU_DEP_1) | instskip(NEXT) | instid1(VALU_DEP_1)
	v_lshrrev_b32_e32 v1, 16, v1
	v_mad_co_u64_u32 v[239:240], null, ttmp9, 7, v[1:2]
	v_mov_b32_e32 v240, 0
	s_wait_kmcnt 0x0
	s_delay_alu instid0(VALU_DEP_1)
	v_cmpx_gt_u64_e64 s[16:17], v[239:240]
	s_cbranch_execz .LBB0_10
; %bb.1:
	s_clause 0x1
	s_load_b128 s[4:7], s[0:1], 0x18
	s_load_b128 s[8:11], s[0:1], 0x0
	v_mul_lo_u16 v1, v1, 17
	s_mov_b32 s16, 0xa6aea964
	s_mov_b32 s17, 0xbfd87de2
	;; [unrolled: 1-line block ×3, first 2 shown]
	s_load_b64 s[0:1], s[0:1], 0x38
	v_sub_nc_u16 v0, v0, v1
	s_delay_alu instid0(VALU_DEP_1)
	v_and_b32_e32 v253, 0xffff, v0
	s_wait_kmcnt 0x0
	s_load_b128 s[12:15], s[4:5], 0x0
	s_wait_kmcnt 0x0
	v_mad_co_u64_u32 v[1:2], null, s14, v239, 0
	v_mad_co_u64_u32 v[3:4], null, s12, v253, 0
	s_mul_u64 s[2:3], s[12:13], 0x110
	s_delay_alu instid0(VALU_DEP_1) | instskip(SKIP_4) | instid1(VALU_DEP_1)
	v_mad_co_u64_u32 v[5:6], null, s15, v239, v[2:3]
	s_mov_b32 s14, 0xcf328d46
	s_mov_b32 s15, 0xbfed906b
	s_wait_alu 0xfffe
	s_mov_b32 s20, s14
	v_mov_b32_e32 v2, v5
	v_mad_co_u64_u32 v[6:7], null, s13, v253, v[4:5]
	v_lshlrev_b32_e32 v12, 4, v253
	s_clause 0x1
	global_load_b128 v[15:18], v12, s[8:9]
	global_load_b128 v[19:22], v12, s[8:9] offset:272
	v_mov_b32_e32 v4, v6
	v_lshlrev_b64_e32 v[1:2], 4, v[1:2]
	s_clause 0x7
	global_load_b128 v[23:26], v12, s[8:9] offset:544
	global_load_b128 v[27:30], v12, s[8:9] offset:816
	;; [unrolled: 1-line block ×8, first 2 shown]
	v_lshlrev_b64_e32 v[3:4], 4, v[3:4]
	s_clause 0x1
	global_load_b128 v[60:63], v12, s[8:9] offset:2720
	global_load_b128 v[184:187], v12, s[8:9] offset:2992
	v_add_co_u32 v1, vcc_lo, s18, v1
	v_add_co_ci_u32_e32 v2, vcc_lo, s19, v2, vcc_lo
	s_clause 0x1
	global_load_b128 v[188:191], v12, s[8:9] offset:3264
	global_load_b128 v[192:195], v12, s[8:9] offset:3536
	v_add_co_u32 v1, vcc_lo, v1, v3
	s_wait_alu 0xfffd
	v_add_co_ci_u32_e32 v2, vcc_lo, v2, v4, vcc_lo
	s_mov_b32 s13, 0x3fe6a09e
	s_delay_alu instid0(VALU_DEP_2) | instskip(SKIP_1) | instid1(VALU_DEP_2)
	v_add_co_u32 v5, vcc_lo, v1, s2
	s_wait_alu 0xfffd
	v_add_co_ci_u32_e32 v6, vcc_lo, s3, v2, vcc_lo
	s_mov_b32 s19, 0x3fd87de2
	s_delay_alu instid0(VALU_DEP_2) | instskip(SKIP_1) | instid1(VALU_DEP_2)
	v_add_co_u32 v9, vcc_lo, v5, s2
	s_wait_alu 0xfffd
	v_add_co_ci_u32_e32 v10, vcc_lo, s3, v6, vcc_lo
	s_clause 0x1
	global_load_b128 v[1:4], v[1:2], off
	global_load_b128 v[5:8], v[5:6], off
	v_add_co_u32 v13, vcc_lo, v9, s2
	s_wait_alu 0xfffd
	v_add_co_ci_u32_e32 v14, vcc_lo, s3, v10, vcc_lo
	s_clause 0x1
	global_load_b128 v[64:67], v[9:10], off
	global_load_b128 v[68:71], v[13:14], off
	v_add_co_u32 v56, vcc_lo, v13, s2
	s_wait_alu 0xfffd
	v_add_co_ci_u32_e32 v57, vcc_lo, s3, v14, vcc_lo
	s_mov_b32 s18, s16
	s_delay_alu instid0(VALU_DEP_2) | instskip(SKIP_1) | instid1(VALU_DEP_2)
	v_add_co_u32 v58, vcc_lo, v56, s2
	s_wait_alu 0xfffd
	v_add_co_ci_u32_e32 v59, vcc_lo, s3, v57, vcc_lo
	global_load_b128 v[72:75], v[56:57], off
	v_add_co_u32 v9, vcc_lo, v58, s2
	s_wait_alu 0xfffd
	v_add_co_ci_u32_e32 v10, vcc_lo, s3, v59, vcc_lo
	global_load_b128 v[76:79], v[58:59], off
	;; [unrolled: 4-line block ×9, first 2 shown]
	v_add_co_u32 v56, vcc_lo, v13, s2
	s_wait_alu 0xfffd
	v_add_co_ci_u32_e32 v57, vcc_lo, s3, v14, vcc_lo
	s_delay_alu instid0(VALU_DEP_2) | instskip(SKIP_1) | instid1(VALU_DEP_2)
	v_add_co_u32 v9, vcc_lo, v56, s2
	s_wait_alu 0xfffd
	v_add_co_ci_u32_e32 v10, vcc_lo, s3, v57, vcc_lo
	global_load_b128 v[108:111], v[13:14], off
	global_load_b128 v[112:115], v[56:57], off
	s_clause 0x1
	global_load_b128 v[55:58], v12, s[8:9] offset:3808
	global_load_b128 v[196:199], v12, s[8:9] offset:4080
	global_load_b128 v[116:119], v[9:10], off
	v_mul_hi_u32 v9, 0x24924925, v239
	s_load_b128 s[4:7], s[6:7], 0x0
	s_mov_b32 s2, 0x667f3bcd
	s_mov_b32 s3, 0xbfe6a09e
	s_wait_alu 0xfffe
	s_mov_b32 s12, s2
	v_cmp_gt_u16_e32 vcc_lo, 16, v0
	s_delay_alu instid0(VALU_DEP_2) | instskip(NEXT) | instid1(VALU_DEP_1)
	v_sub_nc_u32_e32 v10, v239, v9
	v_lshrrev_b32_e32 v10, 1, v10
	s_delay_alu instid0(VALU_DEP_1) | instskip(NEXT) | instid1(VALU_DEP_1)
	v_add_nc_u32_e32 v11, v10, v9
	v_lshrrev_b32_e32 v11, 2, v11
	s_delay_alu instid0(VALU_DEP_1)
	v_mul_lo_u32 v11, v11, 7
	s_wait_loadcnt 0x1f
	scratch_store_b128 off, v[15:18], off   ; 16-byte Folded Spill
	s_wait_loadcnt 0x1e
	scratch_store_b128 off, v[19:22], off offset:16 ; 16-byte Folded Spill
	s_wait_loadcnt 0x1d
	scratch_store_b128 off, v[23:26], off offset:32 ; 16-byte Folded Spill
	;; [unrolled: 2-line block ×13, first 2 shown]
	s_wait_loadcnt 0x11
	v_mul_f64_e32 v[9:10], v[3:4], v[17:18]
	v_mul_f64_e32 v[13:14], v[1:2], v[17:18]
	s_wait_loadcnt 0x10
	v_mul_f64_e32 v[124:125], v[7:8], v[21:22]
	v_mul_f64_e32 v[126:127], v[5:6], v[21:22]
	;; [unrolled: 3-line block ×9, first 2 shown]
	v_fma_f64 v[120:121], v[1:2], v[15:16], v[9:10]
	v_fma_f64 v[122:123], v[3:4], v[15:16], -v[13:14]
	v_fma_f64 v[2:3], v[5:6], v[19:20], v[124:125]
	s_wait_loadcnt 0x8
	v_mul_f64_e32 v[156:157], v[94:95], v[53:54]
	v_mul_f64_e32 v[158:159], v[92:93], v[53:54]
	v_fma_f64 v[4:5], v[7:8], v[19:20], -v[126:127]
	v_fma_f64 v[6:7], v[64:65], v[23:24], v[128:129]
	v_fma_f64 v[8:9], v[66:67], v[23:24], -v[130:131]
	s_wait_loadcnt 0x7
	v_mul_f64_e32 v[160:161], v[98:99], v[62:63]
	v_mul_f64_e32 v[162:163], v[96:97], v[62:63]
	v_fma_f64 v[64:65], v[68:69], v[27:28], v[132:133]
	v_fma_f64 v[66:67], v[70:71], v[27:28], -v[134:135]
	v_sub_nc_u32_e32 v1, v239, v11
	s_wait_loadcnt 0x6
	v_mul_f64_e32 v[164:165], v[102:103], v[186:187]
	v_mul_f64_e32 v[166:167], v[100:101], v[186:187]
	v_fma_f64 v[68:69], v[72:73], v[35:36], v[136:137]
	v_fma_f64 v[70:71], v[74:75], v[35:36], -v[138:139]
	s_wait_loadcnt 0x5
	v_mul_f64_e32 v[168:169], v[106:107], v[190:191]
	v_mul_f64_e32 v[170:171], v[104:105], v[190:191]
	v_mul_u32_u24_e32 v1, 0x110, v1
	v_fma_f64 v[72:73], v[76:77], v[31:32], v[140:141]
	v_fma_f64 v[74:75], v[78:79], v[31:32], -v[142:143]
	s_wait_loadcnt 0x4
	v_mul_f64_e32 v[172:173], v[110:111], v[194:195]
	v_mul_f64_e32 v[174:175], v[108:109], v[194:195]
	s_wait_loadcnt 0x2
	v_mul_f64_e32 v[176:177], v[114:115], v[57:58]
	v_mul_f64_e32 v[178:179], v[112:113], v[57:58]
	;; [unrolled: 3-line block ×3, first 2 shown]
	v_fma_f64 v[76:77], v[80:81], v[39:40], v[144:145]
	v_fma_f64 v[78:79], v[82:83], v[39:40], -v[146:147]
	v_fma_f64 v[80:81], v[84:85], v[43:44], v[148:149]
	v_fma_f64 v[82:83], v[86:87], v[43:44], -v[150:151]
	v_lshlrev_b32_e32 v240, 4, v1
	s_clause 0x1
	scratch_store_b128 off, v[55:58], off offset:224
	scratch_store_b128 off, v[196:199], off offset:240
	v_fma_f64 v[84:85], v[88:89], v[47:48], v[152:153]
	v_fma_f64 v[86:87], v[90:91], v[47:48], -v[154:155]
	v_add_nc_u32_e32 v255, v12, v240
	v_or_b32_e32 v0, v1, v253
	v_fma_f64 v[88:89], v[92:93], v[51:52], v[156:157]
	v_fma_f64 v[90:91], v[94:95], v[51:52], -v[158:159]
	v_fma_f64 v[92:93], v[96:97], v[60:61], v[160:161]
	v_fma_f64 v[94:95], v[98:99], v[60:61], -v[162:163]
	;; [unrolled: 2-line block ×7, first 2 shown]
	ds_store_b128 v255, v[120:123]
	ds_store_b128 v255, v[2:5] offset:272
	ds_store_b128 v255, v[6:9] offset:544
	;; [unrolled: 1-line block ×15, first 2 shown]
	global_wb scope:SCOPE_SE
	s_wait_storecnt_dscnt 0x0
	s_wait_kmcnt 0x0
	s_barrier_signal -1
	s_barrier_wait -1
	global_inv scope:SCOPE_SE
	ds_load_b128 v[2:5], v255 offset:2176
	ds_load_b128 v[6:9], v255
	ds_load_b128 v[64:67], v255 offset:1088
	ds_load_b128 v[68:71], v255 offset:3264
	;; [unrolled: 1-line block ×14, first 2 shown]
	global_wb scope:SCOPE_SE
	s_wait_dscnt 0x0
	s_barrier_signal -1
	s_barrier_wait -1
	global_inv scope:SCOPE_SE
	v_add_f64_e64 v[2:3], v[6:7], -v[2:3]
	v_add_f64_e64 v[4:5], v[8:9], -v[4:5]
	;; [unrolled: 1-line block ×16, first 2 shown]
	v_fma_f64 v[6:7], v[6:7], 2.0, -v[2:3]
	v_fma_f64 v[8:9], v[8:9], 2.0, -v[4:5]
	v_add_f64_e32 v[118:119], v[4:5], v[10:11]
	v_add_f64_e64 v[116:117], v[2:3], -v[13:14]
	v_fma_f64 v[10:11], v[64:65], 2.0, -v[10:11]
	v_fma_f64 v[13:14], v[66:67], 2.0, -v[13:14]
	v_add_f64_e32 v[122:123], v[70:71], v[76:77]
	v_add_f64_e64 v[120:121], v[68:69], -v[78:79]
	;; [unrolled: 4-line block ×3, first 2 shown]
	v_fma_f64 v[72:73], v[80:81], 2.0, -v[76:77]
	v_fma_f64 v[74:75], v[82:83], 2.0, -v[78:79]
	v_add_f64_e64 v[128:129], v[100:101], -v[108:109]
	v_add_f64_e32 v[130:131], v[102:103], v[110:111]
	v_fma_f64 v[76:77], v[88:89], 2.0, -v[84:85]
	v_fma_f64 v[78:79], v[90:91], 2.0, -v[86:87]
	;; [unrolled: 1-line block ×10, first 2 shown]
	v_add_f64_e64 v[10:11], v[6:7], -v[10:11]
	v_add_f64_e64 v[13:14], v[8:9], -v[13:14]
	v_fma_f64 v[70:71], v[70:71], 2.0, -v[122:123]
	v_fma_f64 v[68:69], v[68:69], 2.0, -v[120:121]
	;; [unrolled: 1-line block ×4, first 2 shown]
	v_add_f64_e64 v[72:73], v[64:65], -v[72:73]
	v_add_f64_e64 v[74:75], v[66:67], -v[74:75]
	v_fma_f64 v[96:97], v[100:101], 2.0, -v[128:129]
	v_fma_f64 v[98:99], v[102:103], 2.0, -v[130:131]
	s_wait_alu 0xfffe
	v_fma_f64 v[100:101], v[120:121], s[12:13], v[116:117]
	v_fma_f64 v[102:103], v[122:123], s[12:13], v[118:119]
	v_add_f64_e64 v[80:81], v[76:77], -v[80:81]
	v_add_f64_e64 v[82:83], v[78:79], -v[82:83]
	v_fma_f64 v[104:105], v[128:129], s[12:13], v[124:125]
	v_fma_f64 v[106:107], v[130:131], s[12:13], v[126:127]
	v_add_f64_e64 v[92:93], v[90:91], -v[92:93]
	v_add_f64_e64 v[94:95], v[88:89], -v[94:95]
	v_fma_f64 v[6:7], v[6:7], 2.0, -v[10:11]
	v_fma_f64 v[8:9], v[8:9], 2.0, -v[13:14]
	v_fma_f64 v[110:111], v[70:71], s[2:3], v[4:5]
	v_fma_f64 v[108:109], v[68:69], s[2:3], v[2:3]
	v_fma_f64 v[64:65], v[64:65], 2.0, -v[72:73]
	v_fma_f64 v[66:67], v[66:67], 2.0, -v[74:75]
	v_fma_f64 v[112:113], v[96:97], s[2:3], v[84:85]
	v_fma_f64 v[114:115], v[98:99], s[2:3], v[86:87]
	v_add_f64_e64 v[74:75], v[10:11], -v[74:75]
	v_add_f64_e32 v[72:73], v[13:14], v[72:73]
	v_fma_f64 v[76:77], v[76:77], 2.0, -v[80:81]
	v_fma_f64 v[78:79], v[78:79], 2.0, -v[82:83]
	v_fma_f64 v[132:133], v[122:123], s[2:3], v[100:101]
	v_fma_f64 v[134:135], v[120:121], s[12:13], v[102:103]
	v_add_f64_e64 v[100:101], v[80:81], -v[92:93]
	v_add_f64_e32 v[102:103], v[82:83], v[94:95]
	v_fma_f64 v[104:105], v[130:131], s[2:3], v[104:105]
	v_fma_f64 v[106:107], v[128:129], s[12:13], v[106:107]
	v_fma_f64 v[88:89], v[88:89], 2.0, -v[94:95]
	v_fma_f64 v[90:91], v[90:91], 2.0, -v[92:93]
	v_fma_f64 v[94:95], v[68:69], s[12:13], v[110:111]
	v_fma_f64 v[92:93], v[70:71], s[2:3], v[108:109]
	v_add_f64_e64 v[64:65], v[6:7], -v[64:65]
	v_add_f64_e64 v[66:67], v[8:9], -v[66:67]
	v_fma_f64 v[68:69], v[98:99], s[2:3], v[112:113]
	v_fma_f64 v[70:71], v[96:97], s[12:13], v[114:115]
	v_fma_f64 v[10:11], v[10:11], 2.0, -v[74:75]
	v_fma_f64 v[13:14], v[13:14], 2.0, -v[72:73]
	;; [unrolled: 1-line block ×8, first 2 shown]
	v_add_f64_e64 v[88:89], v[76:77], -v[88:89]
	v_add_f64_e64 v[90:91], v[78:79], -v[90:91]
	v_fma_f64 v[112:113], v[104:105], s[20:21], v[132:133]
	v_fma_f64 v[114:115], v[106:107], s[20:21], v[134:135]
	v_fma_f64 v[4:5], v[4:5], 2.0, -v[94:95]
	v_fma_f64 v[2:3], v[2:3], 2.0, -v[92:93]
	;; [unrolled: 1-line block ×6, first 2 shown]
	v_fma_f64 v[84:85], v[100:101], s[12:13], v[74:75]
	v_fma_f64 v[86:87], v[102:103], s[12:13], v[72:73]
	;; [unrolled: 1-line block ×8, first 2 shown]
	v_fma_f64 v[76:77], v[76:77], 2.0, -v[88:89]
	v_fma_f64 v[78:79], v[78:79], 2.0, -v[90:91]
	v_fma_f64 v[140:141], v[106:107], s[16:17], v[112:113]
	v_fma_f64 v[142:143], v[104:105], s[18:19], v[114:115]
	;; [unrolled: 1-line block ×6, first 2 shown]
	v_add_f64_e64 v[100:101], v[64:65], -v[90:91]
	v_add_f64_e32 v[102:103], v[66:67], v[88:89]
	v_fma_f64 v[84:85], v[70:71], s[14:15], v[128:129]
	v_fma_f64 v[86:87], v[68:69], s[20:21], v[130:131]
	;; [unrolled: 1-line block ×6, first 2 shown]
	v_add_f64_e64 v[124:125], v[6:7], -v[76:77]
	v_add_f64_e64 v[126:127], v[8:9], -v[78:79]
	v_add_co_u32 v33, s2, s8, v12
	s_wait_alu 0xf1ff
	v_add_co_ci_u32_e64 v34, null, s9, 0, s2
                                        ; implicit-def: $vgpr88_vgpr89
	v_fma_f64 v[128:129], v[118:119], s[16:17], v[144:145]
	v_fma_f64 v[130:131], v[116:117], s[18:19], v[146:147]
	v_fma_f64 v[108:109], v[74:75], 2.0, -v[136:137]
	v_fma_f64 v[110:111], v[72:73], 2.0, -v[138:139]
	;; [unrolled: 1-line block ×14, first 2 shown]
	v_lshl_add_u32 v13, v253, 8, v240
	v_lshlrev_b32_e32 v14, 4, v0
	v_fma_f64 v[76:77], v[2:3], 2.0, -v[128:129]
	v_fma_f64 v[78:79], v[4:5], 2.0, -v[130:131]
	ds_store_b128 v13, v[136:139] offset:224
	ds_store_b128 v13, v[140:143] offset:240
	;; [unrolled: 1-line block ×14, first 2 shown]
	ds_store_b128 v13, v[132:135]
	ds_store_b128 v13, v[76:79] offset:16
	global_wb scope:SCOPE_SE
	s_wait_dscnt 0x0
	s_barrier_signal -1
	s_barrier_wait -1
	global_inv scope:SCOPE_SE
	s_and_saveexec_b32 s2, vcc_lo
	s_cbranch_execz .LBB0_3
; %bb.2:
	ds_load_b128 v[132:135], v14
	ds_load_b128 v[76:79], v14 offset:256
	ds_load_b128 v[68:71], v14 offset:512
	;; [unrolled: 1-line block ×16, first 2 shown]
.LBB0_3:
	s_wait_alu 0xfffe
	s_or_b32 exec_lo, exec_lo, s2
	v_and_b32_e32 v0, 0xf0, v12
	s_mov_b32 s2, 0x370991
	s_mov_b32 s18, 0x2a9d6da3
	;; [unrolled: 1-line block ×4, first 2 shown]
	v_lshlrev_b32_e32 v15, 4, v0
	s_mov_b32 s16, 0x75d4884
	s_mov_b32 s17, 0x3fe7a5f6
	;; [unrolled: 1-line block ×4, first 2 shown]
	s_clause 0x2
	global_load_b128 v[2:5], v15, s[10:11]
	global_load_b128 v[27:30], v15, s[10:11] offset:176
	global_load_b128 v[104:107], v15, s[10:11] offset:240
	s_mov_b32 s12, 0x2b2883cd
	s_mov_b32 s13, 0x3fdc86fa
	;; [unrolled: 1-line block ×22, first 2 shown]
	s_wait_loadcnt_dscnt 0x20f
	v_mul_f64_e32 v[0:1], v[78:79], v[4:5]
	scratch_store_b128 off, v[2:5], off offset:256 ; 16-byte Folded Spill
	s_wait_loadcnt 0x1
	scratch_store_b128 off, v[27:30], off offset:384 ; 16-byte Folded Spill
	v_fma_f64 v[249:250], v[76:77], v[2:3], -v[0:1]
	v_mul_f64_e32 v[0:1], v[76:77], v[4:5]
	s_delay_alu instid0(VALU_DEP_1) | instskip(SKIP_3) | instid1(VALU_DEP_1)
	v_fma_f64 v[10:11], v[78:79], v[2:3], v[0:1]
	global_load_b128 v[2:5], v15, s[10:11] offset:16
	s_wait_loadcnt_dscnt 0x100
	v_mul_f64_e32 v[0:1], v[88:89], v[106:107]
	v_fma_f64 v[197:198], v[90:91], v[104:105], v[0:1]
	v_mul_f64_e32 v[0:1], v[90:91], v[106:107]
	s_delay_alu instid0(VALU_DEP_2) | instskip(NEXT) | instid1(VALU_DEP_2)
	v_add_f64_e64 v[237:238], v[10:11], -v[197:198]
	v_fma_f64 v[199:200], v[88:89], v[104:105], -v[0:1]
	v_add_f64_e32 v[247:248], v[10:11], v[197:198]
	s_delay_alu instid0(VALU_DEP_2)
	v_add_f64_e32 v[235:236], v[249:250], v[199:200]
	v_add_f64_e64 v[243:244], v[249:250], -v[199:200]
	s_wait_loadcnt 0x0
	v_mul_f64_e32 v[0:1], v[70:71], v[4:5]
	scratch_store_b128 off, v[2:5], off offset:352 ; 16-byte Folded Spill
	v_fma_f64 v[6:7], v[68:69], v[2:3], -v[0:1]
	v_mul_f64_e32 v[0:1], v[68:69], v[4:5]
	s_delay_alu instid0(VALU_DEP_1)
	v_fma_f64 v[8:9], v[70:71], v[2:3], v[0:1]
	global_load_b128 v[2:5], v15, s[10:11] offset:224
	s_wait_loadcnt 0x0
	v_mul_f64_e32 v[0:1], v[140:141], v[4:5]
	scratch_store_b128 off, v[2:5], off offset:368 ; 16-byte Folded Spill
	v_fma_f64 v[209:210], v[142:143], v[2:3], v[0:1]
	v_mul_f64_e32 v[0:1], v[142:143], v[4:5]
	s_delay_alu instid0(VALU_DEP_2) | instskip(NEXT) | instid1(VALU_DEP_2)
	v_add_f64_e32 v[170:171], v[8:9], v[209:210]
	v_fma_f64 v[211:212], v[140:141], v[2:3], -v[0:1]
	global_load_b128 v[2:5], v15, s[10:11] offset:32
	s_wait_loadcnt 0x0
	v_mul_f64_e32 v[0:1], v[74:75], v[4:5]
	scratch_store_b128 off, v[2:5], off offset:272 ; 16-byte Folded Spill
	v_fma_f64 v[221:222], v[72:73], v[2:3], -v[0:1]
	v_mul_f64_e32 v[0:1], v[72:73], v[4:5]
	s_delay_alu instid0(VALU_DEP_1)
	v_fma_f64 v[25:26], v[74:75], v[2:3], v[0:1]
	global_load_b128 v[2:5], v15, s[10:11] offset:208
	s_wait_loadcnt 0x0
	v_mul_f64_e32 v[0:1], v[138:139], v[4:5]
	scratch_store_b128 off, v[2:5], off offset:288 ; 16-byte Folded Spill
	v_fma_f64 v[223:224], v[136:137], v[2:3], -v[0:1]
	v_mul_f64_e32 v[0:1], v[136:137], v[4:5]
	s_delay_alu instid0(VALU_DEP_1) | instskip(SKIP_4) | instid1(VALU_DEP_2)
	v_fma_f64 v[225:226], v[138:139], v[2:3], v[0:1]
	global_load_b128 v[2:5], v15, s[10:11] offset:48
	v_add_f64_e64 v[138:139], v[6:7], -v[211:212]
	v_add_f64_e32 v[166:167], v[25:26], v[225:226]
	s_wait_alu 0xfffe
	v_mul_f64_e32 v[37:38], s[18:19], v[138:139]
	s_delay_alu instid0(VALU_DEP_1)
	v_fma_f64 v[140:141], v[170:171], s[16:17], -v[37:38]
	s_wait_loadcnt 0x0
	v_mul_f64_e32 v[0:1], v[82:83], v[4:5]
	scratch_store_b128 off, v[2:5], off offset:304 ; 16-byte Folded Spill
	v_fma_f64 v[219:220], v[80:81], v[2:3], -v[0:1]
	v_mul_f64_e32 v[0:1], v[80:81], v[4:5]
	s_delay_alu instid0(VALU_DEP_1)
	v_fma_f64 v[233:234], v[82:83], v[2:3], v[0:1]
	global_load_b128 v[2:5], v15, s[10:11] offset:192
	s_wait_loadcnt 0x0
	v_mul_f64_e32 v[0:1], v[86:87], v[4:5]
	scratch_store_b128 off, v[2:5], off offset:320 ; 16-byte Folded Spill
	v_fma_f64 v[17:18], v[84:85], v[2:3], -v[0:1]
	v_mul_f64_e32 v[0:1], v[84:85], v[4:5]
	v_add_f64_e64 v[84:85], v[8:9], -v[209:210]
	s_delay_alu instid0(VALU_DEP_2)
	v_fma_f64 v[23:24], v[86:87], v[2:3], v[0:1]
	global_load_b128 v[2:5], v15, s[10:11] offset:64
	v_mul_f64_e32 v[35:36], s[18:19], v[84:85]
	v_add_f64_e64 v[86:87], v[25:26], -v[225:226]
	v_add_f64_e64 v[172:173], v[233:234], -v[23:24]
	v_add_f64_e32 v[168:169], v[233:234], v[23:24]
	s_delay_alu instid0(VALU_DEP_3) | instskip(NEXT) | instid1(VALU_DEP_3)
	v_mul_f64_e32 v[39:40], s[14:15], v[86:87]
	v_mul_f64_e32 v[43:44], s[26:27], v[172:173]
	s_wait_loadcnt 0x0
	v_mul_f64_e32 v[0:1], v[98:99], v[4:5]
	scratch_store_b128 off, v[2:5], off offset:336 ; 16-byte Folded Spill
	v_fma_f64 v[227:228], v[96:97], v[2:3], -v[0:1]
	v_mul_f64_e32 v[0:1], v[96:97], v[4:5]
	s_delay_alu instid0(VALU_DEP_1) | instskip(SKIP_1) | instid1(VALU_DEP_1)
	v_fma_f64 v[0:1], v[98:99], v[2:3], v[0:1]
	v_mul_f64_e32 v[2:3], v[102:103], v[29:30]
	v_fma_f64 v[19:20], v[100:101], v[27:28], -v[2:3]
	v_mul_f64_e32 v[2:3], v[100:101], v[29:30]
	s_delay_alu instid0(VALU_DEP_1) | instskip(SKIP_3) | instid1(VALU_DEP_2)
	v_fma_f64 v[21:22], v[102:103], v[27:28], v[2:3]
	global_load_b128 v[100:103], v15, s[10:11] offset:80
	v_add_f64_e64 v[27:28], v[0:1], -v[21:22]
	v_add_f64_e32 v[182:183], v[0:1], v[21:22]
	v_mul_f64_e32 v[47:48], s[24:25], v[27:28]
	s_wait_loadcnt 0x0
	v_mul_f64_e32 v[2:3], v[110:111], v[102:103]
	s_delay_alu instid0(VALU_DEP_1) | instskip(SKIP_1) | instid1(VALU_DEP_1)
	v_fma_f64 v[231:232], v[108:109], v[100:101], -v[2:3]
	v_mul_f64_e32 v[2:3], v[108:109], v[102:103]
	v_fma_f64 v[2:3], v[110:111], v[100:101], v[2:3]
	global_load_b128 v[108:111], v15, s[10:11] offset:160
	s_wait_loadcnt 0x0
	v_mul_f64_e32 v[4:5], v[114:115], v[110:111]
	s_delay_alu instid0(VALU_DEP_1) | instskip(SKIP_1) | instid1(VALU_DEP_1)
	v_fma_f64 v[194:195], v[112:113], v[108:109], -v[4:5]
	v_mul_f64_e32 v[4:5], v[112:113], v[110:111]
	v_fma_f64 v[201:202], v[114:115], v[108:109], v[4:5]
	global_load_b128 v[112:115], v15, s[10:11] offset:96
	v_add_f64_e64 v[29:30], v[2:3], -v[201:202]
	v_add_f64_e32 v[186:187], v[2:3], v[201:202]
	s_delay_alu instid0(VALU_DEP_2) | instskip(SKIP_2) | instid1(VALU_DEP_1)
	v_mul_f64_e32 v[49:50], s[36:37], v[29:30]
	s_wait_loadcnt 0x0
	v_mul_f64_e32 v[4:5], v[118:119], v[114:115]
	v_fma_f64 v[229:230], v[116:117], v[112:113], -v[4:5]
	v_mul_f64_e32 v[4:5], v[116:117], v[114:115]
	s_delay_alu instid0(VALU_DEP_1) | instskip(SKIP_3) | instid1(VALU_DEP_1)
	v_fma_f64 v[4:5], v[118:119], v[112:113], v[4:5]
	global_load_b128 v[116:119], v15, s[10:11] offset:144
	s_wait_loadcnt 0x0
	v_mul_f64_e32 v[136:137], v[122:123], v[118:119]
	v_fma_f64 v[203:204], v[120:121], v[116:117], -v[136:137]
	v_mul_f64_e32 v[120:121], v[120:121], v[118:119]
	s_delay_alu instid0(VALU_DEP_1) | instskip(SKIP_3) | instid1(VALU_DEP_2)
	v_fma_f64 v[205:206], v[122:123], v[116:117], v[120:121]
	global_load_b128 v[120:123], v15, s[10:11] offset:112
	v_add_f64_e64 v[94:95], v[4:5], -v[205:206]
	v_add_f64_e32 v[190:191], v[4:5], v[205:206]
	v_mul_f64_e32 v[53:54], s[34:35], v[94:95]
	s_wait_loadcnt 0x0
	v_mul_f64_e32 v[136:137], v[126:127], v[122:123]
	s_delay_alu instid0(VALU_DEP_1) | instskip(SKIP_1) | instid1(VALU_DEP_1)
	v_fma_f64 v[215:216], v[124:125], v[120:121], -v[136:137]
	v_mul_f64_e32 v[124:125], v[124:125], v[122:123]
	v_fma_f64 v[217:218], v[126:127], v[120:121], v[124:125]
	global_load_b128 v[124:127], v15, s[10:11] offset:128
	s_mov_b32 s10, 0x5d8e7cdc
	s_mov_b32 s11, 0xbfd71e95
	s_delay_alu instid0(SALU_CYCLE_1) | instskip(SKIP_3) | instid1(VALU_DEP_1)
	v_mul_f64_e32 v[63:64], s[10:11], v[237:238]
	v_mul_f64_e32 v[65:66], s[10:11], v[243:244]
	s_wait_loadcnt 0x0
	v_mul_f64_e32 v[136:137], v[130:131], v[126:127]
	v_fma_f64 v[207:208], v[128:129], v[124:125], -v[136:137]
	v_mul_f64_e32 v[128:129], v[128:129], v[126:127]
	v_add_f64_e32 v[136:137], v[6:7], v[211:212]
	s_delay_alu instid0(VALU_DEP_2) | instskip(SKIP_1) | instid1(VALU_DEP_3)
	v_fma_f64 v[213:214], v[130:131], v[124:125], v[128:129]
	v_fma_f64 v[128:129], v[235:236], s[2:3], v[63:64]
	v_fma_f64 v[130:131], v[136:137], s[16:17], v[35:36]
	s_delay_alu instid0(VALU_DEP_3) | instskip(NEXT) | instid1(VALU_DEP_3)
	v_add_f64_e64 v[98:99], v[217:218], -v[213:214]
	v_add_f64_e32 v[128:129], v[132:133], v[128:129]
	v_add_f64_e32 v[192:193], v[217:218], v[213:214]
	s_delay_alu instid0(VALU_DEP_3) | instskip(NEXT) | instid1(VALU_DEP_3)
	v_mul_f64_e32 v[57:58], s[40:41], v[98:99]
	v_add_f64_e32 v[128:129], v[130:131], v[128:129]
	v_fma_f64 v[130:131], v[247:248], s[2:3], -v[65:66]
	s_delay_alu instid0(VALU_DEP_1) | instskip(NEXT) | instid1(VALU_DEP_1)
	v_add_f64_e32 v[130:131], v[134:135], v[130:131]
	v_add_f64_e32 v[130:131], v[140:141], v[130:131]
	;; [unrolled: 1-line block ×3, first 2 shown]
	s_delay_alu instid0(VALU_DEP_1) | instskip(NEXT) | instid1(VALU_DEP_1)
	v_fma_f64 v[142:143], v[140:141], s[12:13], v[39:40]
	v_add_f64_e32 v[128:129], v[142:143], v[128:129]
	v_add_f64_e64 v[142:143], v[221:222], -v[223:224]
	s_delay_alu instid0(VALU_DEP_1) | instskip(NEXT) | instid1(VALU_DEP_1)
	v_mul_f64_e32 v[41:42], s[14:15], v[142:143]
	v_fma_f64 v[146:147], v[166:167], s[12:13], -v[41:42]
	s_delay_alu instid0(VALU_DEP_1) | instskip(SKIP_1) | instid1(VALU_DEP_1)
	v_add_f64_e32 v[130:131], v[146:147], v[130:131]
	v_add_f64_e32 v[146:147], v[219:220], v[17:18]
	v_fma_f64 v[148:149], v[146:147], s[20:21], v[43:44]
	s_delay_alu instid0(VALU_DEP_1) | instskip(SKIP_1) | instid1(VALU_DEP_1)
	v_add_f64_e32 v[128:129], v[148:149], v[128:129]
	v_add_f64_e64 v[148:149], v[219:220], -v[17:18]
	v_mul_f64_e32 v[45:46], s[26:27], v[148:149]
	s_delay_alu instid0(VALU_DEP_1) | instskip(NEXT) | instid1(VALU_DEP_1)
	v_fma_f64 v[150:151], v[168:169], s[20:21], -v[45:46]
	v_add_f64_e32 v[130:131], v[150:151], v[130:131]
	v_add_f64_e32 v[150:151], v[227:228], v[19:20]
	s_delay_alu instid0(VALU_DEP_1) | instskip(NEXT) | instid1(VALU_DEP_1)
	v_fma_f64 v[152:153], v[150:151], s[22:23], v[47:48]
	v_add_f64_e32 v[128:129], v[152:153], v[128:129]
	v_add_f64_e64 v[152:153], v[227:228], -v[19:20]
	s_delay_alu instid0(VALU_DEP_1) | instskip(NEXT) | instid1(VALU_DEP_1)
	v_mul_f64_e32 v[51:52], s[24:25], v[152:153]
	v_fma_f64 v[154:155], v[182:183], s[22:23], -v[51:52]
	s_delay_alu instid0(VALU_DEP_1) | instskip(SKIP_1) | instid1(VALU_DEP_1)
	v_add_f64_e32 v[130:131], v[154:155], v[130:131]
	v_add_f64_e32 v[154:155], v[231:232], v[194:195]
	v_fma_f64 v[156:157], v[154:155], s[28:29], v[49:50]
	s_delay_alu instid0(VALU_DEP_1) | instskip(SKIP_1) | instid1(VALU_DEP_1)
	v_add_f64_e32 v[128:129], v[156:157], v[128:129]
	v_add_f64_e64 v[156:157], v[231:232], -v[194:195]
	v_mul_f64_e32 v[55:56], s[36:37], v[156:157]
	s_delay_alu instid0(VALU_DEP_1) | instskip(NEXT) | instid1(VALU_DEP_1)
	v_fma_f64 v[158:159], v[186:187], s[28:29], -v[55:56]
	v_add_f64_e32 v[130:131], v[158:159], v[130:131]
	v_add_f64_e32 v[158:159], v[229:230], v[203:204]
	s_delay_alu instid0(VALU_DEP_1) | instskip(NEXT) | instid1(VALU_DEP_1)
	v_fma_f64 v[160:161], v[158:159], s[30:31], v[53:54]
	v_add_f64_e32 v[128:129], v[160:161], v[128:129]
	v_add_f64_e64 v[160:161], v[229:230], -v[203:204]
	s_delay_alu instid0(VALU_DEP_1) | instskip(NEXT) | instid1(VALU_DEP_1)
	v_mul_f64_e32 v[59:60], s[34:35], v[160:161]
	v_fma_f64 v[162:163], v[190:191], s[30:31], -v[59:60]
	s_delay_alu instid0(VALU_DEP_1) | instskip(SKIP_1) | instid1(VALU_DEP_1)
	v_add_f64_e32 v[130:131], v[162:163], v[130:131]
	v_add_f64_e32 v[162:163], v[215:216], v[207:208]
	v_fma_f64 v[164:165], v[162:163], s[38:39], v[57:58]
	s_delay_alu instid0(VALU_DEP_1) | instskip(SKIP_1) | instid1(VALU_DEP_1)
	v_add_f64_e32 v[88:89], v[164:165], v[128:129]
	v_add_f64_e64 v[164:165], v[215:216], -v[207:208]
	v_mul_f64_e32 v[61:62], s[40:41], v[164:165]
	s_delay_alu instid0(VALU_DEP_1) | instskip(NEXT) | instid1(VALU_DEP_1)
	v_fma_f64 v[15:16], v[192:193], s[38:39], -v[61:62]
	v_add_f64_e32 v[90:91], v[15:16], v[130:131]
	s_and_saveexec_b32 s33, vcc_lo
	s_cbranch_execz .LBB0_5
; %bb.4:
	v_add_f64_e32 v[10:11], v[134:135], v[10:11]
	s_mov_b32 s47, 0x3fe0d888
	s_mov_b32 s46, s34
	;; [unrolled: 1-line block ×16, first 2 shown]
	v_dual_mov_b32 v129, v28 :: v_dual_mov_b32 v128, v27
	v_dual_mov_b32 v131, v30 :: v_dual_mov_b32 v130, v29
	;; [unrolled: 1-line block ×3, first 2 shown]
	v_mul_f64_e32 v[32:33], s[2:3], v[192:193]
	v_mul_f64_e32 v[144:145], s[22:23], v[166:167]
	v_dual_mov_b32 v93, v91 :: v_dual_mov_b32 v196, v253
	v_dual_mov_b32 v92, v90 :: v_dual_mov_b32 v91, v89
	v_mov_b32_e32 v90, v88
	v_mul_f64_e32 v[88:89], s[56:57], v[86:87]
	v_mul_f64_e32 v[251:252], s[2:3], v[168:169]
	;; [unrolled: 1-line block ×8, first 2 shown]
	v_add_f64_e32 v[8:9], v[10:11], v[8:9]
	v_add_f64_e32 v[10:11], v[132:133], v[249:250]
	v_mul_f64_e32 v[174:175], s[54:55], v[86:87]
	v_mul_f64_e32 v[245:246], s[12:13], v[168:169]
	;; [unrolled: 1-line block ×7, first 2 shown]
	v_add_f64_e32 v[8:9], v[8:9], v[25:26]
	v_add_f64_e32 v[6:7], v[10:11], v[6:7]
	v_mul_f64_e32 v[10:11], s[22:23], v[247:248]
	v_fma_f64 v[70:71], v[152:153], s[40:41], v[68:69]
	v_fma_f64 v[68:69], v[152:153], s[42:43], v[68:69]
	;; [unrolled: 1-line block ×5, first 2 shown]
	v_add_f64_e32 v[8:9], v[8:9], v[233:234]
	v_add_f64_e32 v[6:7], v[6:7], v[221:222]
	v_mul_f64_e32 v[221:222], s[18:19], v[237:238]
	s_delay_alu instid0(VALU_DEP_3) | instskip(NEXT) | instid1(VALU_DEP_3)
	v_add_f64_e32 v[0:1], v[8:9], v[0:1]
	v_add_f64_e32 v[6:7], v[6:7], v[219:220]
	v_mul_f64_e32 v[8:9], s[28:29], v[247:248]
	v_mul_f64_e32 v[219:220], s[14:15], v[237:238]
	s_delay_alu instid0(VALU_DEP_4) | instskip(NEXT) | instid1(VALU_DEP_4)
	v_add_f64_e32 v[0:1], v[0:1], v[2:3]
	v_add_f64_e32 v[6:7], v[6:7], v[227:228]
	s_delay_alu instid0(VALU_DEP_3) | instskip(SKIP_1) | instid1(VALU_DEP_4)
	v_fma_f64 v[233:234], v[235:236], s[12:13], v[219:220]
	v_fma_f64 v[219:220], v[235:236], s[12:13], -v[219:220]
	v_add_f64_e32 v[0:1], v[0:1], v[4:5]
	s_delay_alu instid0(VALU_DEP_4) | instskip(SKIP_1) | instid1(VALU_DEP_3)
	v_add_f64_e32 v[2:3], v[6:7], v[231:232]
	v_mul_f64_e32 v[6:7], s[30:31], v[247:248]
	v_add_f64_e32 v[0:1], v[0:1], v[217:218]
	s_delay_alu instid0(VALU_DEP_3) | instskip(SKIP_1) | instid1(VALU_DEP_3)
	v_add_f64_e32 v[2:3], v[2:3], v[229:230]
	v_mul_f64_e32 v[217:218], s[26:27], v[237:238]
	v_add_f64_e32 v[0:1], v[0:1], v[213:214]
	s_delay_alu instid0(VALU_DEP_3)
	v_add_f64_e32 v[2:3], v[2:3], v[215:216]
	v_mul_f64_e32 v[213:214], s[36:37], v[237:238]
	v_mul_f64_e32 v[215:216], s[24:25], v[237:238]
	v_fma_f64 v[231:232], v[235:236], s[20:21], v[217:218]
	v_fma_f64 v[217:218], v[235:236], s[20:21], -v[217:218]
	v_add_f64_e32 v[0:1], v[0:1], v[205:206]
	v_add_f64_e32 v[2:3], v[2:3], v[207:208]
	v_fma_f64 v[227:228], v[235:236], s[28:29], v[213:214]
	v_fma_f64 v[213:214], v[235:236], s[28:29], -v[213:214]
	v_fma_f64 v[229:230], v[235:236], s[22:23], v[215:216]
	v_fma_f64 v[215:216], v[235:236], s[22:23], -v[215:216]
	v_add_f64_e32 v[0:1], v[0:1], v[201:202]
	v_add_f64_e32 v[2:3], v[2:3], v[203:204]
	v_fma_f64 v[201:202], v[243:244], s[56:57], v[10:11]
	v_fma_f64 v[10:11], v[243:244], s[24:25], v[10:11]
	v_add_f64_e32 v[249:250], v[132:133], v[215:216]
	v_add_f64_e32 v[215:216], v[132:133], v[219:220]
	v_mul_f64_e32 v[219:220], s[28:29], v[182:183]
	v_add_f64_e32 v[0:1], v[0:1], v[21:22]
	v_add_f64_e32 v[2:3], v[2:3], v[194:195]
	s_delay_alu instid0(VALU_DEP_2) | instskip(NEXT) | instid1(VALU_DEP_2)
	v_add_f64_e32 v[0:1], v[0:1], v[23:24]
	v_add_f64_e32 v[2:3], v[2:3], v[19:20]
	v_mul_f64_e32 v[20:21], s[24:25], v[94:95]
	v_mul_f64_e32 v[24:25], s[20:21], v[192:193]
	s_delay_alu instid0(VALU_DEP_4) | instskip(NEXT) | instid1(VALU_DEP_4)
	v_add_f64_e32 v[0:1], v[0:1], v[225:226]
	v_add_f64_e32 v[2:3], v[2:3], v[17:18]
	v_mul_f64_e32 v[16:17], s[12:13], v[247:248]
	v_mul_f64_e32 v[18:19], s[16:17], v[247:248]
	v_fma_f64 v[22:23], v[158:159], s[22:23], v[20:21]
	v_add_f64_e32 v[0:1], v[0:1], v[209:210]
	v_add_f64_e32 v[2:3], v[2:3], v[223:224]
	v_mul_f64_e32 v[209:210], s[40:41], v[237:238]
	v_fma_f64 v[205:206], v[243:244], s[50:51], v[16:17]
	v_fma_f64 v[207:208], v[243:244], s[18:19], v[18:19]
	;; [unrolled: 1-line block ×4, first 2 shown]
	v_add_f64_e32 v[4:5], v[2:3], v[211:212]
	v_add_f64_e32 v[2:3], v[0:1], v[197:198]
	v_fma_f64 v[197:198], v[243:244], s[46:47], v[6:7]
	v_fma_f64 v[6:7], v[243:244], s[34:35], v[6:7]
	v_mul_f64_e32 v[211:212], s[34:35], v[237:238]
	v_fma_f64 v[223:224], v[235:236], s[38:39], v[209:210]
	v_fma_f64 v[209:210], v[235:236], s[38:39], -v[209:210]
	v_fma_f64 v[237:238], v[235:236], s[16:17], v[221:222]
	v_fma_f64 v[221:222], v[235:236], s[16:17], -v[221:222]
	v_add_f64_e32 v[16:17], v[134:135], v[16:17]
	v_add_f64_e32 v[0:1], v[4:5], v[199:200]
	v_fma_f64 v[199:200], v[243:244], s[44:45], v[8:9]
	v_mul_f64_e32 v[4:5], s[38:39], v[247:248]
	v_fma_f64 v[8:9], v[243:244], s[36:37], v[8:9]
	v_fma_f64 v[225:226], v[235:236], s[30:31], v[211:212]
	v_fma_f64 v[211:212], v[235:236], s[30:31], -v[211:212]
	v_add_f64_e32 v[223:224], v[132:133], v[223:224]
	v_add_f64_e32 v[209:210], v[132:133], v[209:210]
	;; [unrolled: 1-line block ×3, first 2 shown]
	ds_store_b128 v14, v[0:3]
	v_mul_f64_e32 v[2:3], s[2:3], v[235:236]
	v_add_f64_e32 v[235:236], v[134:135], v[6:7]
	v_add_f64_e32 v[6:7], v[134:135], v[199:200]
	v_mul_f64_e32 v[14:15], s[20:21], v[247:248]
	v_mul_f64_e32 v[0:1], s[2:3], v[247:248]
	v_fma_f64 v[194:195], v[243:244], s[42:43], v[4:5]
	v_fma_f64 v[4:5], v[243:244], s[40:41], v[4:5]
	v_add_f64_e32 v[247:248], v[134:135], v[10:11]
	v_mul_f64_e32 v[10:11], s[52:53], v[84:85]
	v_add_f64_e32 v[225:226], v[132:133], v[225:226]
	v_add_f64_e32 v[211:212], v[132:133], v[211:212]
	v_mul_f64_e32 v[199:200], s[34:35], v[86:87]
	v_add_f64_e64 v[2:3], v[2:3], -v[63:64]
	scratch_store_b64 off, v[6:7], off offset:472 ; 8-byte Folded Spill
	v_add_f64_e32 v[6:7], v[132:133], v[227:228]
	v_fma_f64 v[203:204], v[243:244], s[48:49], v[14:15]
	v_add_f64_e32 v[0:1], v[65:66], v[0:1]
	v_add_f64_e32 v[194:195], v[134:135], v[194:195]
	;; [unrolled: 1-line block ×3, first 2 shown]
	v_fma_f64 v[14:15], v[243:244], s[26:27], v[14:15]
	v_add_f64_e32 v[4:5], v[134:135], v[4:5]
	v_add_f64_e32 v[243:244], v[132:133], v[213:214]
	;; [unrolled: 1-line block ×3, first 2 shown]
	v_mul_f64_e32 v[217:218], s[54:55], v[172:173]
	v_mul_f64_e32 v[64:65], s[28:29], v[190:191]
	scratch_store_b64 off, v[6:7], off offset:464 ; 8-byte Folded Spill
	v_add_f64_e32 v[6:7], v[134:135], v[201:202]
	v_add_f64_e32 v[201:202], v[134:135], v[0:1]
	;; [unrolled: 1-line block ×5, first 2 shown]
	v_mul_f64_e32 v[221:222], s[36:37], v[27:28]
	v_fma_f64 v[26:27], v[164:165], s[26:27], v[24:25]
	v_fma_f64 v[66:67], v[160:161], s[44:45], v[64:65]
	scratch_store_b64 off, v[6:7], off offset:456 ; 8-byte Folded Spill
	v_add_f64_e32 v[6:7], v[132:133], v[229:230]
	scratch_store_b64 off, v[0:1], off offset:408 ; 8-byte Folded Spill
	v_add_f64_e32 v[0:1], v[132:133], v[237:238]
	v_mul_f64_e32 v[237:238], s[50:51], v[29:30]
	scratch_store_b64 off, v[6:7], off offset:448 ; 8-byte Folded Spill
	v_add_f64_e32 v[6:7], v[134:135], v[203:204]
	v_add_f64_e32 v[203:204], v[132:133], v[2:3]
	scratch_store_b64 off, v[0:1], off offset:400 ; 8-byte Folded Spill
	v_mul_f64_e32 v[0:1], s[22:23], v[190:191]
	scratch_store_b64 off, v[6:7], off offset:440 ; 8-byte Folded Spill
	v_add_f64_e32 v[6:7], v[132:133], v[231:232]
	scratch_store_b64 off, v[6:7], off offset:432 ; 8-byte Folded Spill
	v_add_f64_e32 v[6:7], v[134:135], v[205:206]
	v_add_f64_e32 v[205:206], v[134:135], v[207:208]
	v_mul_f64_e32 v[207:208], s[16:17], v[168:169]
	scratch_store_b64 off, v[6:7], off offset:424 ; 8-byte Folded Spill
	v_add_f64_e32 v[6:7], v[132:133], v[233:234]
	v_fma_f64 v[132:133], v[136:137], s[2:3], v[10:11]
	scratch_store_b64 off, v[6:7], off offset:416 ; 8-byte Folded Spill
	v_mul_f64_e32 v[6:7], s[2:3], v[170:171]
	v_add_f64_e32 v[132:133], v[132:133], v[223:224]
	v_mul_f64_e32 v[223:224], s[12:13], v[186:187]
	s_delay_alu instid0(VALU_DEP_3) | instskip(SKIP_1) | instid1(VALU_DEP_2)
	v_fma_f64 v[8:9], v[138:139], s[10:11], v[6:7]
	v_fma_f64 v[6:7], v[138:139], s[52:53], v[6:7]
	v_add_f64_e32 v[8:9], v[8:9], v[194:195]
	v_mul_f64_e32 v[194:195], s[30:31], v[166:167]
	s_delay_alu instid0(VALU_DEP_3) | instskip(SKIP_1) | instid1(VALU_DEP_3)
	v_add_f64_e32 v[4:5], v[6:7], v[4:5]
	v_fma_f64 v[6:7], v[136:137], s[2:3], -v[10:11]
	v_fma_f64 v[134:135], v[142:143], s[46:47], v[194:195]
	v_fma_f64 v[10:11], v[142:143], s[34:35], v[194:195]
	s_delay_alu instid0(VALU_DEP_3) | instskip(NEXT) | instid1(VALU_DEP_3)
	v_add_f64_e32 v[6:7], v[6:7], v[209:210]
	v_add_f64_e32 v[8:9], v[134:135], v[8:9]
	v_fma_f64 v[134:135], v[140:141], s[30:31], v[199:200]
	s_delay_alu instid0(VALU_DEP_4) | instskip(SKIP_1) | instid1(VALU_DEP_3)
	v_add_f64_e32 v[4:5], v[10:11], v[4:5]
	v_fma_f64 v[10:11], v[140:141], s[30:31], -v[199:200]
	v_add_f64_e32 v[132:133], v[134:135], v[132:133]
	v_fma_f64 v[134:135], v[148:149], s[18:19], v[207:208]
	s_delay_alu instid0(VALU_DEP_3) | instskip(SKIP_1) | instid1(VALU_DEP_3)
	v_add_f64_e32 v[6:7], v[10:11], v[6:7]
	v_fma_f64 v[10:11], v[148:149], s[54:55], v[207:208]
	v_add_f64_e32 v[8:9], v[134:135], v[8:9]
	v_fma_f64 v[134:135], v[146:147], s[16:17], v[217:218]
	s_delay_alu instid0(VALU_DEP_3) | instskip(SKIP_1) | instid1(VALU_DEP_3)
	v_add_f64_e32 v[4:5], v[10:11], v[4:5]
	v_fma_f64 v[10:11], v[146:147], s[16:17], -v[217:218]
	v_add_f64_e32 v[132:133], v[134:135], v[132:133]
	v_fma_f64 v[134:135], v[152:153], s[44:45], v[219:220]
	s_delay_alu instid0(VALU_DEP_3) | instskip(SKIP_1) | instid1(VALU_DEP_3)
	v_add_f64_e32 v[6:7], v[10:11], v[6:7]
	v_fma_f64 v[10:11], v[152:153], s[36:37], v[219:220]
	v_add_f64_e32 v[8:9], v[134:135], v[8:9]
	v_fma_f64 v[134:135], v[150:151], s[28:29], v[221:222]
	s_delay_alu instid0(VALU_DEP_3) | instskip(SKIP_1) | instid1(VALU_DEP_3)
	v_add_f64_e32 v[4:5], v[10:11], v[4:5]
	v_fma_f64 v[10:11], v[150:151], s[28:29], -v[221:222]
	v_add_f64_e32 v[132:133], v[134:135], v[132:133]
	v_fma_f64 v[134:135], v[156:157], s[14:15], v[223:224]
	s_delay_alu instid0(VALU_DEP_3) | instskip(SKIP_2) | instid1(VALU_DEP_4)
	v_add_f64_e32 v[6:7], v[10:11], v[6:7]
	v_fma_f64 v[10:11], v[156:157], s[50:51], v[223:224]
	v_mul_f64_e32 v[223:224], s[22:23], v[192:193]
	v_add_f64_e32 v[8:9], v[134:135], v[8:9]
	v_fma_f64 v[134:135], v[154:155], s[12:13], v[237:238]
	s_delay_alu instid0(VALU_DEP_4) | instskip(SKIP_2) | instid1(VALU_DEP_4)
	v_add_f64_e32 v[4:5], v[10:11], v[4:5]
	v_fma_f64 v[10:11], v[154:155], s[12:13], -v[237:238]
	v_mul_f64_e32 v[237:238], s[56:57], v[29:30]
	v_add_f64_e32 v[132:133], v[134:135], v[132:133]
	v_fma_f64 v[134:135], v[160:161], s[56:57], v[0:1]
	v_fma_f64 v[0:1], v[160:161], s[24:25], v[0:1]
	v_add_f64_e32 v[6:7], v[10:11], v[6:7]
	s_delay_alu instid0(VALU_DEP_4) | instskip(NEXT) | instid1(VALU_DEP_4)
	v_add_f64_e32 v[22:23], v[22:23], v[132:133]
	v_add_f64_e32 v[8:9], v[134:135], v[8:9]
	s_delay_alu instid0(VALU_DEP_4) | instskip(SKIP_2) | instid1(VALU_DEP_4)
	v_add_f64_e32 v[0:1], v[0:1], v[4:5]
	v_fma_f64 v[4:5], v[158:159], s[22:23], -v[20:21]
	v_mul_f64_e32 v[20:21], s[50:51], v[84:85]
	v_add_f64_e32 v[134:135], v[26:27], v[8:9]
	v_mul_f64_e32 v[8:9], s[48:49], v[98:99]
	s_delay_alu instid0(VALU_DEP_4)
	v_add_f64_e32 v[4:5], v[4:5], v[6:7]
	v_fma_f64 v[6:7], v[164:165], s[48:49], v[24:25]
	v_fma_f64 v[10:11], v[136:137], s[12:13], v[20:21]
	v_fma_f64 v[20:21], v[136:137], s[12:13], -v[20:21]
	v_fma_f64 v[26:27], v[162:163], s[20:21], v[8:9]
	v_fma_f64 v[8:9], v[162:163], s[20:21], -v[8:9]
	v_add_f64_e32 v[6:7], v[6:7], v[0:1]
	v_mul_f64_e32 v[0:1], s[12:13], v[170:171]
	v_add_f64_e32 v[10:11], v[10:11], v[225:226]
	v_add_f64_e32 v[20:21], v[20:21], v[211:212]
	v_mul_f64_e32 v[225:226], s[24:25], v[98:99]
	v_mul_f64_e32 v[211:212], s[28:29], v[186:187]
	v_add_f64_e32 v[132:133], v[26:27], v[22:23]
	v_add_f64_e32 v[4:5], v[8:9], v[4:5]
	v_mul_f64_e32 v[22:23], s[20:21], v[166:167]
	v_fma_f64 v[8:9], v[138:139], s[14:15], v[0:1]
	v_fma_f64 v[0:1], v[138:139], s[50:51], v[0:1]
	v_add_f64_e32 v[211:212], v[55:56], v[211:212]
	s_delay_alu instid0(VALU_DEP_4) | instskip(NEXT) | instid1(VALU_DEP_4)
	v_fma_f64 v[24:25], v[142:143], s[48:49], v[22:23]
	v_add_f64_e32 v[8:9], v[8:9], v[197:198]
	s_delay_alu instid0(VALU_DEP_4) | instskip(SKIP_2) | instid1(VALU_DEP_4)
	v_add_f64_e32 v[0:1], v[0:1], v[235:236]
	v_fma_f64 v[22:23], v[142:143], s[26:27], v[22:23]
	v_mul_f64_e32 v[235:236], s[22:23], v[186:187]
	v_add_f64_e32 v[8:9], v[24:25], v[8:9]
	v_mul_f64_e32 v[24:25], s[26:27], v[86:87]
	s_delay_alu instid0(VALU_DEP_4) | instskip(NEXT) | instid1(VALU_DEP_2)
	v_add_f64_e32 v[0:1], v[22:23], v[0:1]
	v_fma_f64 v[26:27], v[140:141], s[20:21], v[24:25]
	v_fma_f64 v[22:23], v[140:141], s[20:21], -v[24:25]
	v_fma_f64 v[24:25], v[162:163], s[22:23], -v[225:226]
	s_delay_alu instid0(VALU_DEP_3) | instskip(SKIP_1) | instid1(VALU_DEP_4)
	v_add_f64_e32 v[10:11], v[26:27], v[10:11]
	v_mul_f64_e32 v[26:27], s[28:29], v[168:169]
	v_add_f64_e32 v[20:21], v[22:23], v[20:21]
	s_delay_alu instid0(VALU_DEP_2) | instskip(SKIP_2) | instid1(VALU_DEP_3)
	v_fma_f64 v[194:195], v[148:149], s[36:37], v[26:27]
	v_fma_f64 v[22:23], v[148:149], s[44:45], v[26:27]
	v_mul_f64_e32 v[26:27], s[20:21], v[168:169]
	v_add_f64_e32 v[8:9], v[194:195], v[8:9]
	v_mul_f64_e32 v[194:195], s[44:45], v[172:173]
	s_delay_alu instid0(VALU_DEP_4) | instskip(NEXT) | instid1(VALU_DEP_4)
	v_add_f64_e32 v[0:1], v[22:23], v[0:1]
	v_add_f64_e32 v[26:27], v[45:46], v[26:27]
	s_delay_alu instid0(VALU_DEP_3) | instskip(SKIP_2) | instid1(VALU_DEP_3)
	v_fma_f64 v[197:198], v[146:147], s[28:29], v[194:195]
	v_fma_f64 v[22:23], v[146:147], s[28:29], -v[194:195]
	v_mul_f64_e32 v[194:195], s[20:21], v[146:147]
	v_add_f64_e32 v[10:11], v[197:198], v[10:11]
	v_mul_f64_e32 v[197:198], s[2:3], v[182:183]
	s_delay_alu instid0(VALU_DEP_4) | instskip(NEXT) | instid1(VALU_DEP_4)
	v_add_f64_e32 v[20:21], v[22:23], v[20:21]
	v_add_f64_e64 v[194:195], v[194:195], -v[43:44]
	v_mul_f64_e32 v[44:45], s[16:17], v[182:183]
	s_delay_alu instid0(VALU_DEP_4) | instskip(SKIP_1) | instid1(VALU_DEP_2)
	v_fma_f64 v[199:200], v[152:153], s[52:53], v[197:198]
	v_fma_f64 v[22:23], v[152:153], s[10:11], v[197:198]
	v_add_f64_e32 v[8:9], v[199:200], v[8:9]
	v_mul_f64_e32 v[199:200], s[10:11], v[128:129]
	s_delay_alu instid0(VALU_DEP_3) | instskip(NEXT) | instid1(VALU_DEP_2)
	v_add_f64_e32 v[0:1], v[22:23], v[0:1]
	v_fma_f64 v[207:208], v[150:151], s[2:3], v[199:200]
	v_fma_f64 v[22:23], v[150:151], s[2:3], -v[199:200]
	s_delay_alu instid0(VALU_DEP_2) | instskip(SKIP_1) | instid1(VALU_DEP_3)
	v_add_f64_e32 v[10:11], v[207:208], v[10:11]
	v_mul_f64_e32 v[207:208], s[38:39], v[186:187]
	v_add_f64_e32 v[20:21], v[22:23], v[20:21]
	s_delay_alu instid0(VALU_DEP_2) | instskip(SKIP_2) | instid1(VALU_DEP_3)
	v_fma_f64 v[209:210], v[156:157], s[42:43], v[207:208]
	v_fma_f64 v[22:23], v[156:157], s[40:41], v[207:208]
	v_mul_f64_e32 v[207:208], s[22:23], v[182:183]
	v_add_f64_e32 v[8:9], v[209:210], v[8:9]
	v_mul_f64_e32 v[209:210], s[40:41], v[29:30]
	s_delay_alu instid0(VALU_DEP_4) | instskip(NEXT) | instid1(VALU_DEP_4)
	v_add_f64_e32 v[0:1], v[22:23], v[0:1]
	v_add_f64_e32 v[207:208], v[51:52], v[207:208]
	v_mul_f64_e32 v[28:29], s[12:13], v[190:191]
	s_delay_alu instid0(VALU_DEP_4) | instskip(SKIP_2) | instid1(VALU_DEP_4)
	v_fma_f64 v[217:218], v[154:155], s[38:39], v[209:210]
	v_fma_f64 v[22:23], v[154:155], s[38:39], -v[209:210]
	v_mul_f64_e32 v[209:210], s[22:23], v[150:151]
	v_fma_f64 v[30:31], v[160:161], s[50:51], v[28:29]
	s_delay_alu instid0(VALU_DEP_4) | instskip(SKIP_4) | instid1(VALU_DEP_4)
	v_add_f64_e32 v[10:11], v[217:218], v[10:11]
	v_mul_f64_e32 v[217:218], s[16:17], v[190:191]
	v_add_f64_e32 v[20:21], v[22:23], v[20:21]
	v_add_f64_e64 v[209:210], v[209:210], -v[47:48]
	v_fma_f64 v[46:47], v[152:153], s[54:55], v[44:45]
	v_fma_f64 v[219:220], v[160:161], s[18:19], v[217:218]
	;; [unrolled: 1-line block ×3, first 2 shown]
	s_delay_alu instid0(VALU_DEP_2) | instskip(SKIP_1) | instid1(VALU_DEP_3)
	v_add_f64_e32 v[8:9], v[219:220], v[8:9]
	v_mul_f64_e32 v[219:220], s[54:55], v[94:95]
	v_add_f64_e32 v[0:1], v[22:23], v[0:1]
	s_delay_alu instid0(VALU_DEP_2) | instskip(SKIP_1) | instid1(VALU_DEP_2)
	v_fma_f64 v[22:23], v[158:159], s[16:17], -v[219:220]
	v_fma_f64 v[221:222], v[158:159], s[16:17], v[219:220]
	v_add_f64_e32 v[20:21], v[22:23], v[20:21]
	v_fma_f64 v[22:23], v[164:165], s[24:25], v[223:224]
	s_delay_alu instid0(VALU_DEP_3)
	v_add_f64_e32 v[221:222], v[221:222], v[10:11]
	v_fma_f64 v[10:11], v[164:165], s[56:57], v[223:224]
	v_mul_f64_e32 v[223:224], s[30:31], v[182:183]
	v_mul_f64_e32 v[182:183], s[20:21], v[182:183]
	v_add_f64_e32 v[197:198], v[24:25], v[20:21]
	v_add_f64_e32 v[199:200], v[22:23], v[0:1]
	v_mul_f64_e32 v[0:1], s[16:17], v[170:171]
	v_mul_f64_e32 v[20:21], s[16:17], v[136:137]
	;; [unrolled: 1-line block ×4, first 2 shown]
	v_add_f64_e32 v[10:11], v[10:11], v[8:9]
	v_fma_f64 v[8:9], v[162:163], s[22:23], v[225:226]
	v_mul_f64_e32 v[225:226], s[46:47], v[128:129]
	v_add_f64_e32 v[0:1], v[37:38], v[0:1]
	v_add_f64_e64 v[20:21], v[20:21], -v[35:36]
	v_add_f64_e32 v[22:23], v[41:42], v[22:23]
	v_add_f64_e64 v[24:25], v[24:25], -v[39:40]
	v_fma_f64 v[34:35], v[164:165], s[52:53], v[32:33]
	v_add_f64_e32 v[8:9], v[8:9], v[221:222]
	v_mul_f64_e32 v[221:222], s[40:41], v[172:173]
	v_mul_f64_e32 v[36:37], s[38:39], v[166:167]
	;; [unrolled: 1-line block ×3, first 2 shown]
	v_add_f64_e32 v[0:1], v[0:1], v[201:202]
	v_add_f64_e32 v[20:21], v[20:21], v[203:204]
	v_mul_f64_e32 v[201:202], s[28:29], v[154:155]
	v_fma_f64 v[38:39], v[142:143], s[42:43], v[36:37]
	v_fma_f64 v[42:43], v[148:149], s[56:57], v[40:41]
	v_add_f64_e32 v[0:1], v[22:23], v[0:1]
	v_add_f64_e32 v[20:21], v[24:25], v[20:21]
	v_mul_f64_e32 v[22:23], s[30:31], v[190:191]
	v_add_f64_e64 v[201:202], v[201:202], -v[49:50]
	v_mul_f64_e32 v[24:25], s[30:31], v[158:159]
	v_mul_f64_e32 v[48:49], s[2:3], v[186:187]
	v_mul_f64_e32 v[186:187], s[16:17], v[186:187]
	v_add_f64_e32 v[0:1], v[26:27], v[0:1]
	v_add_f64_e32 v[20:21], v[194:195], v[20:21]
	;; [unrolled: 1-line block ×3, first 2 shown]
	v_mul_f64_e32 v[26:27], s[38:39], v[192:193]
	v_add_f64_e64 v[24:25], v[24:25], -v[53:54]
	v_mul_f64_e32 v[194:195], s[38:39], v[162:163]
	v_fma_f64 v[50:51], v[156:157], s[10:11], v[48:49]
	v_mul_f64_e32 v[52:53], s[20:21], v[190:191]
	v_add_f64_e32 v[0:1], v[207:208], v[0:1]
	v_add_f64_e32 v[20:21], v[209:210], v[20:21]
	;; [unrolled: 1-line block ×3, first 2 shown]
	v_mul_f64_e32 v[60:61], s[40:41], v[84:85]
	v_add_f64_e64 v[194:195], v[194:195], -v[57:58]
	v_mul_f64_e32 v[56:57], s[30:31], v[192:193]
	v_fma_f64 v[54:55], v[160:161], s[26:27], v[52:53]
	v_mul_f64_e32 v[192:193], s[12:13], v[192:193]
	v_add_f64_e32 v[0:1], v[211:212], v[0:1]
	v_add_f64_e32 v[20:21], v[201:202], v[20:21]
	v_fma_f64 v[62:63], v[136:137], s[38:39], -v[60:61]
	v_fma_f64 v[58:59], v[164:165], s[34:35], v[56:57]
	s_delay_alu instid0(VALU_DEP_4)
	v_add_f64_e32 v[0:1], v[22:23], v[0:1]
	v_mul_f64_e32 v[22:23], s[26:27], v[84:85]
	v_add_f64_e32 v[20:21], v[24:25], v[20:21]
	v_add_f64_e32 v[62:63], v[62:63], v[213:214]
	v_fma_f64 v[213:214], v[142:143], s[56:57], v[144:145]
	v_add_f64_e32 v[203:204], v[26:27], v[0:1]
	v_mul_f64_e32 v[0:1], s[20:21], v[170:171]
	v_fma_f64 v[24:25], v[136:137], s[20:21], -v[22:23]
	v_add_f64_e32 v[201:202], v[194:195], v[20:21]
	s_delay_alu instid0(VALU_DEP_3) | instskip(NEXT) | instid1(VALU_DEP_3)
	v_fma_f64 v[20:21], v[138:139], s[26:27], v[0:1]
	v_add_f64_e32 v[18:19], v[24:25], v[18:19]
	v_mul_f64_e32 v[24:25], s[28:29], v[166:167]
	v_fma_f64 v[0:1], v[138:139], s[48:49], v[0:1]
	s_delay_alu instid0(VALU_DEP_4) | instskip(NEXT) | instid1(VALU_DEP_3)
	v_add_f64_e32 v[20:21], v[20:21], v[205:206]
	v_fma_f64 v[26:27], v[142:143], s[36:37], v[24:25]
	s_delay_alu instid0(VALU_DEP_1) | instskip(SKIP_1) | instid1(VALU_DEP_1)
	v_add_f64_e32 v[20:21], v[26:27], v[20:21]
	v_mul_f64_e32 v[26:27], s[36:37], v[86:87]
	v_fma_f64 v[194:195], v[140:141], s[28:29], -v[26:27]
	s_delay_alu instid0(VALU_DEP_1) | instskip(SKIP_1) | instid1(VALU_DEP_1)
	v_add_f64_e32 v[18:19], v[194:195], v[18:19]
	v_mul_f64_e32 v[194:195], s[38:39], v[168:169]
	v_fma_f64 v[205:206], v[148:149], s[40:41], v[194:195]
	s_delay_alu instid0(VALU_DEP_1) | instskip(SKIP_1) | instid1(VALU_DEP_1)
	v_add_f64_e32 v[20:21], v[205:206], v[20:21]
	v_fma_f64 v[205:206], v[146:147], s[38:39], -v[221:222]
	v_add_f64_e32 v[18:19], v[205:206], v[18:19]
	v_fma_f64 v[205:206], v[152:153], s[46:47], v[223:224]
	s_delay_alu instid0(VALU_DEP_1) | instskip(SKIP_1) | instid1(VALU_DEP_1)
	v_add_f64_e32 v[20:21], v[205:206], v[20:21]
	v_fma_f64 v[205:206], v[150:151], s[30:31], -v[225:226]
	v_add_f64_e32 v[18:19], v[205:206], v[18:19]
	v_fma_f64 v[205:206], v[156:157], s[56:57], v[235:236]
	s_delay_alu instid0(VALU_DEP_1) | instskip(SKIP_1) | instid1(VALU_DEP_2)
	v_add_f64_e32 v[20:21], v[205:206], v[20:21]
	v_fma_f64 v[205:206], v[154:155], s[22:23], -v[237:238]
	v_add_f64_e32 v[20:21], v[30:31], v[20:21]
	v_mul_f64_e32 v[30:31], s[50:51], v[94:95]
	s_delay_alu instid0(VALU_DEP_3) | instskip(NEXT) | instid1(VALU_DEP_3)
	v_add_f64_e32 v[18:19], v[205:206], v[18:19]
	v_add_f64_e32 v[207:208], v[34:35], v[20:21]
	s_delay_alu instid0(VALU_DEP_3) | instskip(SKIP_1) | instid1(VALU_DEP_2)
	v_fma_f64 v[205:206], v[158:159], s[12:13], -v[30:31]
	v_mul_f64_e32 v[20:21], s[52:53], v[98:99]
	v_add_f64_e32 v[18:19], v[205:206], v[18:19]
	s_delay_alu instid0(VALU_DEP_2) | instskip(NEXT) | instid1(VALU_DEP_1)
	v_fma_f64 v[34:35], v[162:163], s[2:3], -v[20:21]
	v_add_f64_e32 v[205:206], v[34:35], v[18:19]
	v_mul_f64_e32 v[18:19], s[28:29], v[170:171]
	s_delay_alu instid0(VALU_DEP_1) | instskip(NEXT) | instid1(VALU_DEP_1)
	v_fma_f64 v[34:35], v[138:139], s[36:37], v[18:19]
	v_add_f64_e32 v[16:17], v[34:35], v[16:17]
	v_mul_f64_e32 v[34:35], s[36:37], v[84:85]
	s_delay_alu instid0(VALU_DEP_2) | instskip(NEXT) | instid1(VALU_DEP_2)
	v_add_f64_e32 v[16:17], v[38:39], v[16:17]
	v_fma_f64 v[209:210], v[136:137], s[28:29], -v[34:35]
	v_mul_f64_e32 v[38:39], s[42:43], v[86:87]
	s_delay_alu instid0(VALU_DEP_3) | instskip(NEXT) | instid1(VALU_DEP_3)
	v_add_f64_e32 v[16:17], v[42:43], v[16:17]
	v_add_f64_e32 v[209:210], v[209:210], v[215:216]
	s_delay_alu instid0(VALU_DEP_3)
	v_fma_f64 v[211:212], v[140:141], s[38:39], -v[38:39]
	v_mul_f64_e32 v[42:43], s[56:57], v[172:173]
	v_mul_f64_e32 v[172:173], s[34:35], v[172:173]
	v_add_f64_e32 v[16:17], v[46:47], v[16:17]
	v_mul_f64_e32 v[46:47], s[54:55], v[128:129]
	v_add_f64_e32 v[209:210], v[211:212], v[209:210]
	v_fma_f64 v[211:212], v[146:147], s[22:23], -v[42:43]
	s_delay_alu instid0(VALU_DEP_4) | instskip(SKIP_1) | instid1(VALU_DEP_3)
	v_add_f64_e32 v[16:17], v[50:51], v[16:17]
	v_mul_f64_e32 v[50:51], s[10:11], v[130:131]
	v_add_f64_e32 v[209:210], v[211:212], v[209:210]
	v_fma_f64 v[211:212], v[150:151], s[16:17], -v[46:47]
	s_delay_alu instid0(VALU_DEP_4) | instskip(SKIP_1) | instid1(VALU_DEP_3)
	v_add_f64_e32 v[16:17], v[54:55], v[16:17]
	v_mul_f64_e32 v[54:55], s[26:27], v[94:95]
	v_add_f64_e32 v[209:210], v[211:212], v[209:210]
	v_fma_f64 v[211:212], v[154:155], s[2:3], -v[50:51]
	s_delay_alu instid0(VALU_DEP_1) | instskip(NEXT) | instid1(VALU_DEP_4)
	v_add_f64_e32 v[209:210], v[211:212], v[209:210]
	v_fma_f64 v[211:212], v[158:159], s[20:21], -v[54:55]
	s_delay_alu instid0(VALU_DEP_1) | instskip(SKIP_2) | instid1(VALU_DEP_1)
	v_add_f64_e32 v[209:210], v[211:212], v[209:210]
	v_add_f64_e32 v[211:212], v[58:59], v[16:17]
	v_mul_f64_e32 v[16:17], s[34:35], v[98:99]
	v_fma_f64 v[58:59], v[162:163], s[30:31], -v[16:17]
	v_fma_f64 v[16:17], v[162:163], s[30:31], v[16:17]
	s_delay_alu instid0(VALU_DEP_2) | instskip(SKIP_1) | instid1(VALU_DEP_1)
	v_add_f64_e32 v[209:210], v[58:59], v[209:210]
	v_mul_f64_e32 v[58:59], s[38:39], v[170:171]
	v_fma_f64 v[215:216], v[138:139], s[40:41], v[58:59]
	s_delay_alu instid0(VALU_DEP_1) | instskip(NEXT) | instid1(VALU_DEP_1)
	v_add_f64_e32 v[14:15], v[215:216], v[14:15]
	v_add_f64_e32 v[14:15], v[213:214], v[14:15]
	v_fma_f64 v[213:214], v[140:141], s[22:23], -v[88:89]
	s_delay_alu instid0(VALU_DEP_1) | instskip(SKIP_1) | instid1(VALU_DEP_1)
	v_add_f64_e32 v[62:63], v[213:214], v[62:63]
	v_fma_f64 v[213:214], v[148:149], s[52:53], v[251:252]
	v_add_f64_e32 v[14:15], v[213:214], v[14:15]
	v_fma_f64 v[213:214], v[146:147], s[2:3], -v[253:254]
	s_delay_alu instid0(VALU_DEP_1) | instskip(SKIP_1) | instid1(VALU_DEP_1)
	v_add_f64_e32 v[62:63], v[213:214], v[62:63]
	v_fma_f64 v[213:214], v[152:153], s[14:15], v[241:242]
	;; [unrolled: 5-line block ×3, first 2 shown]
	v_add_f64_e32 v[14:15], v[213:214], v[14:15]
	v_fma_f64 v[213:214], v[154:155], s[30:31], -v[188:189]
	s_delay_alu instid0(VALU_DEP_2) | instskip(SKIP_1) | instid1(VALU_DEP_3)
	v_add_f64_e32 v[14:15], v[66:67], v[14:15]
	v_mul_f64_e32 v[66:67], s[44:45], v[94:95]
	v_add_f64_e32 v[62:63], v[213:214], v[62:63]
	s_delay_alu instid0(VALU_DEP_2) | instskip(NEXT) | instid1(VALU_DEP_1)
	v_fma_f64 v[213:214], v[158:159], s[28:29], -v[66:67]
	v_add_f64_e32 v[62:63], v[213:214], v[62:63]
	v_fma_f64 v[213:214], v[164:165], s[54:55], v[178:179]
	s_delay_alu instid0(VALU_DEP_1) | instskip(SKIP_1) | instid1(VALU_DEP_1)
	v_add_f64_e32 v[215:216], v[213:214], v[14:15]
	v_mul_f64_e32 v[14:15], s[54:55], v[98:99]
	v_fma_f64 v[213:214], v[162:163], s[16:17], -v[14:15]
	v_fma_f64 v[14:15], v[162:163], s[16:17], v[14:15]
	s_delay_alu instid0(VALU_DEP_2) | instskip(SKIP_1) | instid1(VALU_DEP_1)
	v_add_f64_e32 v[213:214], v[213:214], v[62:63]
	v_mul_f64_e32 v[62:63], s[30:31], v[170:171]
	v_fma_f64 v[217:218], v[138:139], s[46:47], v[62:63]
	v_fma_f64 v[62:63], v[138:139], s[34:35], v[62:63]
	s_delay_alu instid0(VALU_DEP_2) | instskip(SKIP_1) | instid1(VALU_DEP_1)
	v_add_f64_e32 v[217:218], v[217:218], v[247:248]
	v_mul_f64_e32 v[247:248], s[46:47], v[84:85]
	v_fma_f64 v[219:220], v[136:137], s[30:31], -v[247:248]
	s_delay_alu instid0(VALU_DEP_1) | instskip(SKIP_1) | instid1(VALU_DEP_1)
	v_add_f64_e32 v[219:220], v[219:220], v[249:250]
	v_mul_f64_e32 v[249:250], s[16:17], v[166:167]
	v_fma_f64 v[2:3], v[142:143], s[54:55], v[249:250]
	s_delay_alu instid0(VALU_DEP_1) | instskip(SKIP_1) | instid1(VALU_DEP_1)
	v_add_f64_e32 v[2:3], v[2:3], v[217:218]
	v_fma_f64 v[217:218], v[140:141], s[16:17], -v[174:175]
	v_add_f64_e32 v[217:218], v[217:218], v[219:220]
	v_fma_f64 v[219:220], v[148:149], s[14:15], v[245:246]
	s_delay_alu instid0(VALU_DEP_1) | instskip(SKIP_1) | instid1(VALU_DEP_2)
	v_add_f64_e32 v[2:3], v[219:220], v[2:3]
	v_fma_f64 v[219:220], v[146:147], s[12:13], -v[176:177]
	v_add_f64_e32 v[2:3], v[70:71], v[2:3]
	v_mul_f64_e32 v[70:71], s[40:41], v[128:129]
	s_delay_alu instid0(VALU_DEP_3) | instskip(NEXT) | instid1(VALU_DEP_3)
	v_add_f64_e32 v[217:218], v[219:220], v[217:218]
	v_add_f64_e32 v[2:3], v[74:75], v[2:3]
	s_delay_alu instid0(VALU_DEP_3) | instskip(SKIP_1) | instid1(VALU_DEP_3)
	v_fma_f64 v[219:220], v[150:151], s[38:39], -v[70:71]
	v_mul_f64_e32 v[74:75], s[48:49], v[130:131]
	v_add_f64_e32 v[2:3], v[78:79], v[2:3]
	s_delay_alu instid0(VALU_DEP_3) | instskip(NEXT) | instid1(VALU_DEP_3)
	v_add_f64_e32 v[217:218], v[219:220], v[217:218]
	v_fma_f64 v[219:220], v[154:155], s[20:21], -v[74:75]
	v_mul_f64_e32 v[78:79], s[10:11], v[94:95]
	s_delay_alu instid0(VALU_DEP_2) | instskip(NEXT) | instid1(VALU_DEP_2)
	v_add_f64_e32 v[217:218], v[219:220], v[217:218]
	v_fma_f64 v[219:220], v[158:159], s[2:3], -v[78:79]
	s_delay_alu instid0(VALU_DEP_1) | instskip(SKIP_2) | instid1(VALU_DEP_1)
	v_add_f64_e32 v[217:218], v[219:220], v[217:218]
	v_add_f64_e32 v[219:220], v[82:83], v[2:3]
	v_mul_f64_e32 v[2:3], s[36:37], v[98:99]
	v_fma_f64 v[82:83], v[162:163], s[28:29], -v[2:3]
	v_fma_f64 v[2:3], v[162:163], s[28:29], v[2:3]
	s_delay_alu instid0(VALU_DEP_2) | instskip(SKIP_1) | instid1(VALU_DEP_1)
	v_add_f64_e32 v[217:218], v[82:83], v[217:218]
	v_mul_f64_e32 v[82:83], s[22:23], v[170:171]
	v_fma_f64 v[170:171], v[138:139], s[56:57], v[82:83]
	v_fma_f64 v[82:83], v[138:139], s[24:25], v[82:83]
	s_delay_alu instid0(VALU_DEP_2) | instskip(SKIP_1) | instid1(VALU_DEP_1)
	v_add_f64_e32 v[170:171], v[170:171], v[227:228]
	v_mul_f64_e32 v[227:228], s[56:57], v[84:85]
	v_fma_f64 v[233:234], v[136:137], s[22:23], -v[227:228]
	s_delay_alu instid0(VALU_DEP_1) | instskip(SKIP_1) | instid1(VALU_DEP_1)
	v_add_f64_e32 v[233:234], v[233:234], v[243:244]
	v_mul_f64_e32 v[243:244], s[2:3], v[166:167]
	v_fma_f64 v[166:167], v[142:143], s[10:11], v[243:244]
	s_delay_alu instid0(VALU_DEP_1)
	v_add_f64_e32 v[166:167], v[166:167], v[170:171]
	v_mul_f64_e32 v[170:171], s[10:11], v[86:87]
	v_mul_f64_e32 v[86:87], s[38:39], v[190:191]
	;; [unrolled: 1-line block ×3, first 2 shown]
	scratch_load_b64 v[94:95], off, off offset:464 th:TH_LOAD_LU ; 8-byte Folded Reload
	v_fma_f64 v[231:232], v[140:141], s[2:3], -v[170:171]
	s_delay_alu instid0(VALU_DEP_1) | instskip(SKIP_1) | instid1(VALU_DEP_1)
	v_add_f64_e32 v[231:232], v[231:232], v[233:234]
	v_mul_f64_e32 v[233:234], s[30:31], v[168:169]
	v_fma_f64 v[168:169], v[148:149], s[34:35], v[233:234]
	s_delay_alu instid0(VALU_DEP_1) | instskip(SKIP_1) | instid1(VALU_DEP_1)
	v_add_f64_e32 v[166:167], v[168:169], v[166:167]
	v_fma_f64 v[168:169], v[146:147], s[30:31], -v[172:173]
	v_add_f64_e32 v[168:169], v[168:169], v[231:232]
	v_fma_f64 v[231:232], v[152:153], s[48:49], v[182:183]
	s_delay_alu instid0(VALU_DEP_1) | instskip(SKIP_2) | instid1(VALU_DEP_2)
	v_add_f64_e32 v[166:167], v[231:232], v[166:167]
	v_mul_f64_e32 v[231:232], s[48:49], v[128:129]
	v_mul_f64_e32 v[128:129], s[50:51], v[98:99]
	v_fma_f64 v[229:230], v[150:151], s[20:21], -v[231:232]
	s_delay_alu instid0(VALU_DEP_1) | instskip(SKIP_1) | instid1(VALU_DEP_1)
	v_add_f64_e32 v[168:169], v[229:230], v[168:169]
	v_fma_f64 v[229:230], v[156:157], s[18:19], v[186:187]
	v_add_f64_e32 v[166:167], v[229:230], v[166:167]
	v_mul_f64_e32 v[229:230], s[18:19], v[130:131]
	v_fma_f64 v[130:131], v[164:165], s[50:51], v[192:193]
	s_delay_alu instid0(VALU_DEP_2) | instskip(NEXT) | instid1(VALU_DEP_1)
	v_fma_f64 v[84:85], v[154:155], s[16:17], -v[229:230]
	v_add_f64_e32 v[84:85], v[84:85], v[168:169]
	v_fma_f64 v[168:169], v[160:161], s[40:41], v[86:87]
	v_fma_f64 v[86:87], v[160:161], s[42:43], v[86:87]
	s_delay_alu instid0(VALU_DEP_2) | instskip(SKIP_1) | instid1(VALU_DEP_1)
	v_add_f64_e32 v[166:167], v[168:169], v[166:167]
	v_fma_f64 v[168:169], v[158:159], s[38:39], -v[190:191]
	v_add_f64_e32 v[84:85], v[168:169], v[84:85]
	s_delay_alu instid0(VALU_DEP_3) | instskip(SKIP_2) | instid1(VALU_DEP_2)
	v_add_f64_e32 v[168:169], v[130:131], v[166:167]
	v_fma_f64 v[130:131], v[162:163], s[12:13], -v[128:129]
	v_fma_f64 v[128:129], v[162:163], s[12:13], v[128:129]
	v_add_f64_e32 v[166:167], v[130:131], v[84:85]
	scratch_load_b64 v[84:85], off, off offset:472 th:TH_LOAD_LU ; 8-byte Folded Reload
	v_fma_f64 v[130:131], v[142:143], s[52:53], v[243:244]
	s_wait_loadcnt 0x0
	v_add_f64_e32 v[82:83], v[82:83], v[84:85]
	v_fma_f64 v[84:85], v[136:137], s[22:23], v[227:228]
	s_delay_alu instid0(VALU_DEP_2) | instskip(NEXT) | instid1(VALU_DEP_2)
	v_add_f64_e32 v[82:83], v[130:131], v[82:83]
	v_add_f64_e32 v[84:85], v[84:85], v[94:95]
	v_fma_f64 v[130:131], v[140:141], s[2:3], v[170:171]
	s_delay_alu instid0(VALU_DEP_1) | instskip(SKIP_1) | instid1(VALU_DEP_1)
	v_add_f64_e32 v[84:85], v[130:131], v[84:85]
	v_fma_f64 v[130:131], v[148:149], s[46:47], v[233:234]
	v_add_f64_e32 v[82:83], v[130:131], v[82:83]
	v_fma_f64 v[130:131], v[146:147], s[30:31], v[172:173]
	s_delay_alu instid0(VALU_DEP_1) | instskip(SKIP_1) | instid1(VALU_DEP_1)
	v_add_f64_e32 v[84:85], v[130:131], v[84:85]
	v_fma_f64 v[130:131], v[152:153], s[26:27], v[182:183]
	;; [unrolled: 5-line block ×3, first 2 shown]
	v_add_f64_e32 v[82:83], v[130:131], v[82:83]
	v_fma_f64 v[130:131], v[154:155], s[16:17], v[229:230]
	s_delay_alu instid0(VALU_DEP_2) | instskip(NEXT) | instid1(VALU_DEP_2)
	v_add_f64_e32 v[82:83], v[86:87], v[82:83]
	v_add_f64_e32 v[84:85], v[130:131], v[84:85]
	v_fma_f64 v[86:87], v[158:159], s[38:39], v[190:191]
	s_delay_alu instid0(VALU_DEP_1) | instskip(SKIP_1) | instid1(VALU_DEP_2)
	v_add_f64_e32 v[84:85], v[86:87], v[84:85]
	v_fma_f64 v[86:87], v[164:165], s[14:15], v[192:193]
	v_add_f64_e32 v[170:171], v[128:129], v[84:85]
	s_delay_alu instid0(VALU_DEP_2)
	v_add_f64_e32 v[172:173], v[86:87], v[82:83]
	s_clause 0x1
	scratch_load_b64 v[82:83], off, off offset:456 th:TH_LOAD_LU
	scratch_load_b64 v[84:85], off, off offset:448 th:TH_LOAD_LU
	s_wait_loadcnt 0x1
	v_add_f64_e32 v[62:63], v[62:63], v[82:83]
	v_fma_f64 v[82:83], v[136:137], s[30:31], v[247:248]
	s_wait_loadcnt 0x0
	s_delay_alu instid0(VALU_DEP_1) | instskip(SKIP_1) | instid1(VALU_DEP_1)
	v_add_f64_e32 v[82:83], v[82:83], v[84:85]
	v_fma_f64 v[84:85], v[142:143], s[18:19], v[249:250]
	v_add_f64_e32 v[62:63], v[84:85], v[62:63]
	v_fma_f64 v[84:85], v[140:141], s[16:17], v[174:175]
	s_delay_alu instid0(VALU_DEP_1) | instskip(SKIP_1) | instid1(VALU_DEP_1)
	v_add_f64_e32 v[82:83], v[84:85], v[82:83]
	v_fma_f64 v[84:85], v[148:149], s[50:51], v[245:246]
	v_add_f64_e32 v[62:63], v[84:85], v[62:63]
	v_fma_f64 v[84:85], v[146:147], s[12:13], v[176:177]
	s_delay_alu instid0(VALU_DEP_2) | instskip(NEXT) | instid1(VALU_DEP_2)
	v_add_f64_e32 v[62:63], v[68:69], v[62:63]
	v_add_f64_e32 v[82:83], v[84:85], v[82:83]
	v_fma_f64 v[68:69], v[150:151], s[38:39], v[70:71]
	v_fma_f64 v[70:71], v[156:157], s[26:27], v[72:73]
	s_delay_alu instid0(VALU_DEP_2) | instskip(NEXT) | instid1(VALU_DEP_2)
	v_add_f64_e32 v[68:69], v[68:69], v[82:83]
	v_add_f64_e32 v[62:63], v[70:71], v[62:63]
	v_fma_f64 v[70:71], v[154:155], s[20:21], v[74:75]
	s_delay_alu instid0(VALU_DEP_1) | instskip(SKIP_1) | instid1(VALU_DEP_1)
	v_add_f64_e32 v[68:69], v[70:71], v[68:69]
	v_fma_f64 v[70:71], v[160:161], s[52:53], v[76:77]
	v_add_f64_e32 v[62:63], v[70:71], v[62:63]
	v_fma_f64 v[70:71], v[158:159], s[2:3], v[78:79]
	s_delay_alu instid0(VALU_DEP_1) | instskip(SKIP_1) | instid1(VALU_DEP_2)
	v_add_f64_e32 v[68:69], v[70:71], v[68:69]
	v_fma_f64 v[70:71], v[164:165], s[44:45], v[80:81]
	v_add_f64_e32 v[174:175], v[2:3], v[68:69]
	v_fma_f64 v[2:3], v[138:139], s[42:43], v[58:59]
	scratch_load_b64 v[58:59], off, off offset:440 th:TH_LOAD_LU ; 8-byte Folded Reload
	v_add_f64_e32 v[176:177], v[70:71], v[62:63]
	s_wait_loadcnt 0x0
	v_add_f64_e32 v[2:3], v[2:3], v[58:59]
	v_fma_f64 v[58:59], v[136:137], s[38:39], v[60:61]
	scratch_load_b64 v[60:61], off, off offset:432 th:TH_LOAD_LU ; 8-byte Folded Reload
	s_wait_loadcnt 0x0
	v_add_f64_e32 v[58:59], v[58:59], v[60:61]
	v_fma_f64 v[60:61], v[142:143], s[24:25], v[144:145]
	s_delay_alu instid0(VALU_DEP_1) | instskip(SKIP_1) | instid1(VALU_DEP_1)
	v_add_f64_e32 v[2:3], v[60:61], v[2:3]
	v_fma_f64 v[60:61], v[140:141], s[22:23], v[88:89]
	v_add_f64_e32 v[58:59], v[60:61], v[58:59]
	v_fma_f64 v[60:61], v[148:149], s[10:11], v[251:252]
	s_delay_alu instid0(VALU_DEP_1) | instskip(SKIP_2) | instid1(VALU_DEP_2)
	v_add_f64_e32 v[2:3], v[60:61], v[2:3]
	v_fma_f64 v[60:61], v[146:147], s[2:3], v[253:254]
	v_dual_mov_b32 v253, v196 :: v_dual_mov_b32 v88, v90
	v_add_f64_e32 v[58:59], v[60:61], v[58:59]
	v_fma_f64 v[60:61], v[152:153], s[50:51], v[241:242]
	s_delay_alu instid0(VALU_DEP_1) | instskip(SKIP_1) | instid1(VALU_DEP_1)
	v_add_f64_e32 v[2:3], v[60:61], v[2:3]
	v_fma_f64 v[60:61], v[150:151], s[12:13], v[180:181]
	v_add_f64_e32 v[58:59], v[60:61], v[58:59]
	v_fma_f64 v[60:61], v[156:157], s[46:47], v[184:185]
	s_delay_alu instid0(VALU_DEP_1) | instskip(SKIP_1) | instid1(VALU_DEP_1)
	v_add_f64_e32 v[2:3], v[60:61], v[2:3]
	v_fma_f64 v[60:61], v[154:155], s[30:31], v[188:189]
	;; [unrolled: 5-line block ×3, first 2 shown]
	v_add_f64_e32 v[58:59], v[60:61], v[58:59]
	v_fma_f64 v[60:61], v[164:165], s[18:19], v[178:179]
	s_delay_alu instid0(VALU_DEP_2)
	v_add_f64_e32 v[178:179], v[14:15], v[58:59]
	scratch_load_b64 v[14:15], off, off offset:424 th:TH_LOAD_LU ; 8-byte Folded Reload
	v_add_f64_e32 v[180:181], v[60:61], v[2:3]
	v_fma_f64 v[2:3], v[138:139], s[44:45], v[18:19]
	scratch_load_b64 v[18:19], off, off offset:416 th:TH_LOAD_LU ; 8-byte Folded Reload
	s_wait_loadcnt 0x1
	v_add_f64_e32 v[2:3], v[2:3], v[14:15]
	v_fma_f64 v[14:15], v[136:137], s[28:29], v[34:35]
	s_wait_loadcnt 0x0
	s_delay_alu instid0(VALU_DEP_1) | instskip(SKIP_1) | instid1(VALU_DEP_1)
	v_add_f64_e32 v[14:15], v[14:15], v[18:19]
	v_fma_f64 v[18:19], v[142:143], s[40:41], v[36:37]
	v_add_f64_e32 v[2:3], v[18:19], v[2:3]
	v_fma_f64 v[18:19], v[140:141], s[38:39], v[38:39]
	s_delay_alu instid0(VALU_DEP_1) | instskip(SKIP_1) | instid1(VALU_DEP_1)
	v_add_f64_e32 v[14:15], v[18:19], v[14:15]
	v_fma_f64 v[18:19], v[148:149], s[24:25], v[40:41]
	v_add_f64_e32 v[2:3], v[18:19], v[2:3]
	v_fma_f64 v[18:19], v[146:147], s[22:23], v[42:43]
	;; [unrolled: 5-line block ×5, first 2 shown]
	s_delay_alu instid0(VALU_DEP_1) | instskip(SKIP_1) | instid1(VALU_DEP_2)
	v_add_f64_e32 v[14:15], v[18:19], v[14:15]
	v_fma_f64 v[18:19], v[164:165], s[46:47], v[56:57]
	v_add_f64_e32 v[182:183], v[16:17], v[14:15]
	s_delay_alu instid0(VALU_DEP_2)
	v_add_f64_e32 v[184:185], v[18:19], v[2:3]
	s_clause 0x1
	scratch_load_b64 v[16:17], off, off offset:408 th:TH_LOAD_LU
	scratch_load_b64 v[18:19], off, off offset:400 th:TH_LOAD_LU
	v_fma_f64 v[2:3], v[136:137], s[20:21], v[22:23]
	v_fma_f64 v[14:15], v[142:143], s[44:45], v[24:25]
	s_wait_loadcnt 0x1
	v_add_f64_e32 v[0:1], v[0:1], v[16:17]
	v_fma_f64 v[16:17], v[140:141], s[28:29], v[26:27]
	s_wait_loadcnt 0x0
	s_delay_alu instid0(VALU_DEP_4) | instskip(SKIP_1) | instid1(VALU_DEP_4)
	v_add_f64_e32 v[2:3], v[2:3], v[18:19]
	v_fma_f64 v[18:19], v[148:149], s[42:43], v[194:195]
	v_add_f64_e32 v[0:1], v[14:15], v[0:1]
	v_fma_f64 v[14:15], v[146:147], s[38:39], v[221:222]
	s_delay_alu instid0(VALU_DEP_4) | instskip(SKIP_1) | instid1(VALU_DEP_4)
	v_add_f64_e32 v[2:3], v[16:17], v[2:3]
	v_fma_f64 v[16:17], v[152:153], s[34:35], v[223:224]
	v_add_f64_e32 v[0:1], v[18:19], v[0:1]
	v_fma_f64 v[18:19], v[150:151], s[30:31], v[225:226]
	;; [unrolled: 5-line block ×4, first 2 shown]
	s_delay_alu instid0(VALU_DEP_4)
	v_add_f64_e32 v[2:3], v[16:17], v[2:3]
	v_fma_f64 v[16:17], v[164:165], s[10:11], v[32:33]
	v_mov_b32_e32 v33, v96
	v_dual_mov_b32 v89, v91 :: v_dual_mov_b32 v90, v92
	v_dual_mov_b32 v91, v93 :: v_dual_mov_b32 v34, v97
	v_add_f64_e32 v[0:1], v[18:19], v[0:1]
	v_fma_f64 v[18:19], v[162:163], s[2:3], v[20:21]
	v_add_f64_e32 v[14:15], v[14:15], v[2:3]
	s_delay_alu instid0(VALU_DEP_3) | instskip(NEXT) | instid1(VALU_DEP_2)
	v_add_f64_e32 v[2:3], v[16:17], v[0:1]
	v_add_f64_e32 v[0:1], v[18:19], v[14:15]
	v_lshl_add_u32 v14, v253, 4, v240
	ds_store_b128 v14, v[201:204] offset:256
	ds_store_b128 v14, v[205:208] offset:512
	;; [unrolled: 1-line block ×16, first 2 shown]
.LBB0_5:
	s_or_b32 exec_lo, exec_lo, s33
	global_wb scope:SCOPE_SE
	s_wait_storecnt_dscnt 0x0
	s_barrier_signal -1
	s_barrier_wait -1
	global_inv scope:SCOPE_SE
	global_load_b128 v[132:135], v[33:34], off offset:4352
	s_add_nc_u64 s[2:3], s[8:9], 0x1100
	s_clause 0x4
	global_load_b128 v[0:3], v12, s[2:3] offset:272
	global_load_b128 v[4:7], v12, s[2:3] offset:544
	;; [unrolled: 1-line block ×5, first 2 shown]
	ds_load_b128 v[140:143], v255
	ds_load_b128 v[148:151], v255 offset:1632
	ds_load_b128 v[184:187], v255 offset:3264
	;; [unrolled: 1-line block ×5, first 2 shown]
	s_mov_b32 s9, 0x3fe6a09e
	s_mov_b32 s10, 0xcf328d46
	;; [unrolled: 1-line block ×4, first 2 shown]
	s_wait_alu 0xfffe
	s_mov_b32 s16, s10
	s_mov_b32 s12, 0xa6aea964
	;; [unrolled: 1-line block ×4, first 2 shown]
	s_wait_alu 0xfffe
	s_mov_b32 s14, s12
	ds_load_b128 v[154:157], v255 offset:1904
	ds_load_b128 v[160:163], v255 offset:2176
	;; [unrolled: 1-line block ×5, first 2 shown]
	s_wait_loadcnt_dscnt 0x50a
	v_mul_f64_e32 v[14:15], v[142:143], v[134:135]
	v_mul_f64_e32 v[16:17], v[140:141], v[134:135]
	s_delay_alu instid0(VALU_DEP_2) | instskip(NEXT) | instid1(VALU_DEP_2)
	v_fma_f64 v[140:141], v[140:141], v[132:133], -v[14:15]
	v_fma_f64 v[142:143], v[142:143], v[132:133], v[16:17]
	ds_load_b128 v[132:135], v255 offset:272
	s_wait_loadcnt_dscnt 0x400
	v_mul_f64_e32 v[14:15], v[134:135], v[2:3]
	v_mul_f64_e32 v[2:3], v[132:133], v[2:3]
	s_delay_alu instid0(VALU_DEP_2) | instskip(NEXT) | instid1(VALU_DEP_2)
	v_fma_f64 v[132:133], v[132:133], v[0:1], -v[14:15]
	v_fma_f64 v[134:135], v[134:135], v[0:1], v[2:3]
	ds_load_b128 v[0:3], v255 offset:544
	;; [unrolled: 7-line block ×5, first 2 shown]
	s_wait_loadcnt_dscnt 0x0
	v_mul_f64_e32 v[14:15], v[138:139], v[146:147]
	v_mul_f64_e32 v[16:17], v[136:137], v[146:147]
	s_delay_alu instid0(VALU_DEP_2) | instskip(NEXT) | instid1(VALU_DEP_2)
	v_fma_f64 v[136:137], v[136:137], v[144:145], -v[14:15]
	v_fma_f64 v[138:139], v[138:139], v[144:145], v[16:17]
	global_load_b128 v[144:147], v12, s[2:3] offset:1632
	s_wait_loadcnt 0x0
	v_mul_f64_e32 v[14:15], v[150:151], v[146:147]
	v_mul_f64_e32 v[16:17], v[148:149], v[146:147]
	s_delay_alu instid0(VALU_DEP_2) | instskip(NEXT) | instid1(VALU_DEP_2)
	v_fma_f64 v[146:147], v[148:149], v[144:145], -v[14:15]
	v_fma_f64 v[148:149], v[150:151], v[144:145], v[16:17]
	global_load_b128 v[150:153], v12, s[2:3] offset:1904
	s_wait_loadcnt 0x0
	;; [unrolled: 7-line block ×9, first 2 shown]
	v_mul_f64_e32 v[14:15], v[199:200], v[194:195]
	v_mul_f64_e32 v[16:17], v[197:198], v[194:195]
	s_delay_alu instid0(VALU_DEP_2) | instskip(NEXT) | instid1(VALU_DEP_2)
	v_fma_f64 v[197:198], v[197:198], v[192:193], -v[14:15]
	v_fma_f64 v[199:200], v[199:200], v[192:193], v[16:17]
	global_load_b128 v[192:195], v12, s[2:3] offset:4080
	s_mov_b32 s2, 0x667f3bcd
	s_mov_b32 s3, 0xbfe6a09e
	s_wait_alu 0xfffe
	s_mov_b32 s8, s2
	s_wait_loadcnt 0x0
	v_mul_f64_e32 v[14:15], v[203:204], v[194:195]
	v_mul_f64_e32 v[16:17], v[201:202], v[194:195]
	s_delay_alu instid0(VALU_DEP_2) | instskip(NEXT) | instid1(VALU_DEP_2)
	v_fma_f64 v[201:202], v[201:202], v[192:193], -v[14:15]
	v_fma_f64 v[203:204], v[203:204], v[192:193], v[16:17]
	ds_store_b128 v255, v[140:143]
	ds_store_b128 v255, v[132:135] offset:272
	ds_store_b128 v255, v[0:3] offset:544
	;; [unrolled: 1-line block ×15, first 2 shown]
	global_wb scope:SCOPE_SE
	s_wait_dscnt 0x0
	s_barrier_signal -1
	s_barrier_wait -1
	global_inv scope:SCOPE_SE
	ds_load_b128 v[0:3], v255 offset:2176
	ds_load_b128 v[4:7], v255
	ds_load_b128 v[8:11], v255 offset:1088
	ds_load_b128 v[132:135], v255 offset:3264
	;; [unrolled: 1-line block ×6, first 2 shown]
	s_wait_dscnt 0x6
	v_add_f64_e64 v[14:15], v[4:5], -v[0:1]
	v_add_f64_e64 v[16:17], v[6:7], -v[2:3]
	s_wait_dscnt 0x4
	v_add_f64_e64 v[18:19], v[8:9], -v[132:133]
	v_add_f64_e64 v[20:21], v[10:11], -v[134:135]
	ds_load_b128 v[0:3], v255 offset:272
	ds_load_b128 v[132:135], v255 offset:2448
	s_wait_dscnt 0x4
	v_add_f64_e64 v[22:23], v[136:137], -v[140:141]
	v_add_f64_e64 v[24:25], v[138:139], -v[142:143]
	s_wait_dscnt 0x2
	v_add_f64_e64 v[26:27], v[144:145], -v[148:149]
	v_add_f64_e64 v[28:29], v[146:147], -v[150:151]
	;; [unrolled: 3-line block ×3, first 2 shown]
	ds_load_b128 v[132:135], v255 offset:1360
	ds_load_b128 v[140:143], v255 offset:3536
	v_fma_f64 v[4:5], v[4:5], 2.0, -v[14:15]
	v_fma_f64 v[6:7], v[6:7], 2.0, -v[16:17]
	;; [unrolled: 1-line block ×4, first 2 shown]
	v_add_f64_e32 v[20:21], v[14:15], v[20:21]
	v_fma_f64 v[46:47], v[136:137], 2.0, -v[22:23]
	v_fma_f64 v[48:49], v[138:139], 2.0, -v[24:25]
	;; [unrolled: 1-line block ×3, first 2 shown]
	s_wait_dscnt 0x0
	v_add_f64_e64 v[34:35], v[132:133], -v[140:141]
	v_add_f64_e64 v[36:37], v[134:135], -v[142:143]
	ds_load_b128 v[140:143], v255 offset:816
	ds_load_b128 v[148:151], v255 offset:2992
	v_fma_f64 v[52:53], v[146:147], 2.0, -v[28:29]
	v_add_f64_e32 v[28:29], v[22:23], v[28:29]
	v_add_f64_e64 v[18:19], v[16:17], -v[18:19]
	v_add_f64_e64 v[26:27], v[24:25], -v[26:27]
	v_fma_f64 v[0:1], v[0:1], 2.0, -v[30:31]
	v_fma_f64 v[2:3], v[2:3], 2.0, -v[32:33]
	s_wait_dscnt 0x0
	v_add_f64_e64 v[38:39], v[140:141], -v[148:149]
	v_add_f64_e64 v[40:41], v[142:143], -v[150:151]
	ds_load_b128 v[148:151], v255 offset:1904
	ds_load_b128 v[152:155], v255 offset:4080
	global_wb scope:SCOPE_SE
	s_wait_dscnt 0x0
	s_barrier_signal -1
	s_barrier_wait -1
	global_inv scope:SCOPE_SE
	v_add_f64_e64 v[8:9], v[4:5], -v[8:9]
	v_add_f64_e64 v[10:11], v[6:7], -v[10:11]
	v_fma_f64 v[14:15], v[14:15], 2.0, -v[20:21]
	v_add_f64_e64 v[50:51], v[46:47], -v[50:51]
	v_fma_f64 v[54:55], v[132:133], 2.0, -v[34:35]
	v_fma_f64 v[56:57], v[134:135], 2.0, -v[36:37]
	v_add_f64_e32 v[36:37], v[30:31], v[36:37]
	v_add_f64_e64 v[52:53], v[48:49], -v[52:53]
	v_add_f64_e64 v[34:35], v[32:33], -v[34:35]
	v_fma_f64 v[16:17], v[16:17], 2.0, -v[18:19]
	v_add_f64_e64 v[42:43], v[150:151], -v[154:155]
	v_add_f64_e64 v[44:45], v[148:149], -v[152:153]
	v_fma_f64 v[58:59], v[140:141], 2.0, -v[38:39]
	v_fma_f64 v[60:61], v[142:143], 2.0, -v[40:41]
	;; [unrolled: 1-line block ×4, first 2 shown]
	v_add_f64_e64 v[68:69], v[10:11], -v[50:51]
	v_add_f64_e64 v[54:55], v[0:1], -v[54:55]
	;; [unrolled: 1-line block ×3, first 2 shown]
	v_fma_f64 v[30:31], v[30:31], 2.0, -v[36:37]
	v_add_f64_e32 v[66:67], v[8:9], v[52:53]
	v_fma_f64 v[62:63], v[150:151], 2.0, -v[42:43]
	v_fma_f64 v[64:65], v[148:149], 2.0, -v[44:45]
	v_add_f64_e32 v[42:43], v[38:39], v[42:43]
	v_add_f64_e64 v[44:45], v[40:41], -v[44:45]
	v_fma_f64 v[0:1], v[0:1], 2.0, -v[54:55]
	v_fma_f64 v[2:3], v[2:3], 2.0, -v[56:57]
	v_add_f64_e64 v[62:63], v[60:61], -v[62:63]
	v_add_f64_e64 v[64:65], v[58:59], -v[64:65]
	s_delay_alu instid0(VALU_DEP_2) | instskip(NEXT) | instid1(VALU_DEP_2)
	v_add_f64_e32 v[70:71], v[54:55], v[62:63]
	v_add_f64_e64 v[72:73], v[56:57], -v[64:65]
	s_wait_alu 0xfffe
	s_delay_alu instid0(VALU_DEP_2) | instskip(NEXT) | instid1(VALU_DEP_2)
	v_fma_f64 v[74:75], v[70:71], s[8:9], v[66:67]
	v_fma_f64 v[76:77], v[72:73], s[8:9], v[68:69]
	s_delay_alu instid0(VALU_DEP_2) | instskip(NEXT) | instid1(VALU_DEP_2)
	v_fma_f64 v[140:141], v[72:73], s[8:9], v[74:75]
	v_fma_f64 v[142:143], v[70:71], s[2:3], v[76:77]
	v_fma_f64 v[70:71], v[54:55], 2.0, -v[70:71]
	v_fma_f64 v[72:73], v[56:57], 2.0, -v[72:73]
	;; [unrolled: 1-line block ×8, first 2 shown]
	v_fma_f64 v[78:79], v[70:71], s[2:3], v[74:75]
	v_fma_f64 v[80:81], v[72:73], s[2:3], v[76:77]
	v_add_f64_e64 v[8:9], v[0:1], -v[8:9]
	v_add_f64_e64 v[10:11], v[2:3], -v[10:11]
	s_delay_alu instid0(VALU_DEP_4) | instskip(NEXT) | instid1(VALU_DEP_4)
	v_fma_f64 v[148:149], v[72:73], s[8:9], v[78:79]
	v_fma_f64 v[150:151], v[70:71], s[2:3], v[80:81]
	;; [unrolled: 1-line block ×6, first 2 shown]
	v_fma_f64 v[0:1], v[0:1], 2.0, -v[8:9]
	v_fma_f64 v[2:3], v[2:3], 2.0, -v[10:11]
	;; [unrolled: 1-line block ×4, first 2 shown]
	v_fma_f64 v[70:71], v[26:27], s[8:9], v[70:71]
	v_fma_f64 v[72:73], v[28:29], s[2:3], v[72:73]
	;; [unrolled: 1-line block ×4, first 2 shown]
	s_delay_alu instid0(VALU_DEP_2) | instskip(NEXT) | instid1(VALU_DEP_2)
	v_fma_f64 v[82:83], v[78:79], s[16:17], v[70:71]
	v_fma_f64 v[84:85], v[80:81], s[16:17], v[72:73]
	s_delay_alu instid0(VALU_DEP_2) | instskip(NEXT) | instid1(VALU_DEP_2)
	v_fma_f64 v[192:193], v[80:81], s[12:13], v[82:83]
	v_fma_f64 v[194:195], v[78:79], s[14:15], v[84:85]
	v_fma_f64 v[78:79], v[36:37], 2.0, -v[78:79]
	v_fma_f64 v[82:83], v[20:21], 2.0, -v[70:71]
	;; [unrolled: 1-line block ×11, first 2 shown]
	v_fma_f64 v[86:87], v[78:79], s[14:15], v[82:83]
	v_fma_f64 v[26:27], v[36:37], s[2:3], v[30:31]
	;; [unrolled: 1-line block ×4, first 2 shown]
	s_delay_alu instid0(VALU_DEP_4) | instskip(NEXT) | instid1(VALU_DEP_4)
	v_fma_f64 v[156:157], v[80:81], s[16:17], v[86:87]
	v_fma_f64 v[26:27], v[24:25], s[8:9], v[26:27]
	;; [unrolled: 1-line block ×6, first 2 shown]
	v_fma_f64 v[136:137], v[82:83], 2.0, -v[156:157]
	v_fma_f64 v[24:25], v[36:37], s[2:3], v[24:25]
	v_fma_f64 v[16:17], v[16:17], 2.0, -v[28:29]
	v_fma_f64 v[18:19], v[20:21], s[8:9], v[18:19]
	v_fma_f64 v[20:21], v[30:31], 2.0, -v[26:27]
	v_fma_f64 v[138:139], v[84:85], 2.0, -v[158:159]
	v_fma_f64 v[30:31], v[24:25], s[12:13], v[28:29]
	v_fma_f64 v[22:23], v[22:23], 2.0, -v[24:25]
	v_fma_f64 v[32:33], v[26:27], s[12:13], v[18:19]
	v_fma_f64 v[14:15], v[14:15], 2.0, -v[18:19]
	s_delay_alu instid0(VALU_DEP_4) | instskip(NEXT) | instid1(VALU_DEP_4)
	v_fma_f64 v[166:167], v[26:27], s[10:11], v[30:31]
	v_fma_f64 v[26:27], v[22:23], s[10:11], v[16:17]
	s_delay_alu instid0(VALU_DEP_4) | instskip(NEXT) | instid1(VALU_DEP_4)
	v_fma_f64 v[164:165], v[24:25], s[16:17], v[32:33]
	v_fma_f64 v[24:25], v[20:21], s[10:11], v[14:15]
	s_delay_alu instid0(VALU_DEP_4) | instskip(NEXT) | instid1(VALU_DEP_4)
	v_fma_f64 v[154:155], v[28:29], 2.0, -v[166:167]
	v_fma_f64 v[174:175], v[20:21], s[14:15], v[26:27]
	v_fma_f64 v[20:21], v[46:47], 2.0, -v[50:51]
	s_delay_alu instid0(VALU_DEP_4)
	v_fma_f64 v[172:173], v[22:23], s[12:13], v[24:25]
	v_fma_f64 v[22:23], v[48:49], 2.0, -v[52:53]
	v_fma_f64 v[152:153], v[18:19], 2.0, -v[164:165]
	;; [unrolled: 1-line block ×3, first 2 shown]
	v_add_f64_e64 v[20:21], v[4:5], -v[20:21]
	v_fma_f64 v[188:189], v[14:15], 2.0, -v[172:173]
	v_add_f64_e64 v[22:23], v[6:7], -v[22:23]
	s_delay_alu instid0(VALU_DEP_3) | instskip(SKIP_1) | instid1(VALU_DEP_3)
	v_fma_f64 v[4:5], v[4:5], 2.0, -v[20:21]
	v_add_f64_e32 v[176:177], v[20:21], v[10:11]
	v_fma_f64 v[6:7], v[6:7], 2.0, -v[22:23]
	v_add_f64_e64 v[178:179], v[22:23], -v[8:9]
	s_delay_alu instid0(VALU_DEP_4) | instskip(NEXT) | instid1(VALU_DEP_4)
	v_add_f64_e64 v[180:181], v[4:5], -v[0:1]
	v_fma_f64 v[144:145], v[20:21], 2.0, -v[176:177]
	s_delay_alu instid0(VALU_DEP_4) | instskip(NEXT) | instid1(VALU_DEP_4)
	v_add_f64_e64 v[182:183], v[6:7], -v[2:3]
	v_fma_f64 v[146:147], v[22:23], 2.0, -v[178:179]
	s_delay_alu instid0(VALU_DEP_4) | instskip(NEXT) | instid1(VALU_DEP_3)
	v_fma_f64 v[132:133], v[4:5], 2.0, -v[180:181]
	v_fma_f64 v[134:135], v[6:7], 2.0, -v[182:183]
	ds_store_b128 v13, v[140:143] offset:224
	ds_store_b128 v13, v[192:195] offset:240
	;; [unrolled: 1-line block ×14, first 2 shown]
	ds_store_b128 v13, v[132:135]
	ds_store_b128 v13, v[188:191] offset:16
	global_wb scope:SCOPE_SE
	s_wait_dscnt 0x0
	s_barrier_signal -1
	s_barrier_wait -1
	global_inv scope:SCOPE_SE
	s_and_saveexec_b32 s2, vcc_lo
	s_cbranch_execz .LBB0_7
; %bb.6:
	ds_load_b128 v[132:135], v255
	ds_load_b128 v[188:191], v255 offset:256
	ds_load_b128 v[184:187], v255 offset:512
	;; [unrolled: 1-line block ×16, first 2 shown]
.LBB0_7:
	s_wait_alu 0xfffe
	s_or_b32 exec_lo, exec_lo, s2
	s_and_saveexec_b32 s33, vcc_lo
	s_cbranch_execz .LBB0_9
; %bb.8:
	s_clause 0x5
	scratch_load_b128 v[32:35], off, off offset:256 th:TH_LOAD_LU
	scratch_load_b128 v[56:59], off, off offset:272 th:TH_LOAD_LU
	scratch_load_b128 v[66:69], off, off offset:352 th:TH_LOAD_LU
	scratch_load_b128 v[80:83], off, off offset:368 th:TH_LOAD_LU
	scratch_load_b128 v[76:79], off, off offset:336 th:TH_LOAD_LU
	scratch_load_b128 v[72:75], off, off offset:320 th:TH_LOAD_LU
	s_wait_dscnt 0x0
	v_mul_f64_e32 v[2:3], v[106:107], v[90:91]
	v_mul_f64_e32 v[6:7], v[106:107], v[88:89]
	;; [unrolled: 1-line block ×10, first 2 shown]
	s_mov_b32 s36, 0xacd6c6b4
	s_mov_b32 s37, 0xbfc7851a
	v_mul_f64_e32 v[26:27], v[102:103], v[162:163]
	s_mov_b32 s18, 0x4363dd80
	s_mov_b32 s19, 0xbfe0d888
	;; [unrolled: 1-line block ×26, first 2 shown]
	s_wait_alu 0xfffe
	s_mov_b32 s38, s52
	v_fma_f64 v[106:107], v[120:121], v[180:181], v[10:11]
	s_mov_b32 s42, s24
	s_mov_b32 s46, s18
	;; [unrolled: 1-line block ×3, first 2 shown]
	v_fma_f64 v[122:123], v[112:113], v[168:169], v[18:19]
	v_fma_f64 v[92:93], v[116:117], v[148:149], v[20:21]
	v_fma_f64 v[126:127], v[112:113], v[170:171], -v[22:23]
	v_fma_f64 v[98:99], v[116:117], v[150:151], -v[24:25]
	v_mov_b32_e32 v196, v239
	v_mov_b32_e32 v254, v240
	s_mov_b32 s2, 0x3259b75e
	s_mov_b32 s3, 0x3fb79ee6
	;; [unrolled: 1-line block ×12, first 2 shown]
	scratch_load_b128 v[60:63], off, off offset:288 th:TH_LOAD_LU ; 16-byte Folded Reload
	v_add_f64_e64 v[116:117], v[122:123], -v[92:93]
	v_add_f64_e32 v[96:97], v[98:99], v[126:127]
	s_delay_alu instid0(VALU_DEP_2)
	v_mul_f64_e32 v[180:181], s[24:25], v[116:117]
	v_mul_f64_e32 v[235:236], s[36:37], v[116:117]
	s_wait_loadcnt 0x6
	v_mul_f64_e32 v[0:1], v[34:35], v[190:191]
	v_mul_f64_e32 v[4:5], v[34:35], v[188:189]
	s_wait_loadcnt 0x4
	v_mul_f64_e32 v[8:9], v[68:69], v[186:187]
	s_wait_loadcnt 0x3
	v_mul_f64_e32 v[28:29], v[82:83], v[194:195]
	v_mul_f64_e32 v[30:31], v[68:69], v[184:185]
	scratch_load_b128 v[68:71], off, off offset:304 th:TH_LOAD_LU ; 16-byte Folded Reload
	v_dual_mov_b32 v34, v88 :: v_dual_mov_b32 v35, v89
	v_dual_mov_b32 v36, v90 :: v_dual_mov_b32 v37, v91
	v_mul_f64_e32 v[44:45], v[58:59], v[138:139]
	v_mul_f64_e32 v[52:53], v[58:59], v[136:137]
	s_delay_alu instid0(VALU_DEP_4)
	v_fma_f64 v[90:91], v[104:105], v[34:35], v[2:3]
	v_mul_f64_e32 v[2:3], v[110:111], v[158:159]
	v_fma_f64 v[94:95], v[104:105], v[36:37], -v[6:7]
	v_mul_f64_e32 v[6:7], v[110:111], v[156:157]
	s_wait_loadcnt 0x3
	v_mul_f64_e32 v[36:37], v[78:79], v[152:153]
	s_wait_loadcnt 0x2
	v_mul_f64_e32 v[42:43], v[74:75], v[166:167]
	v_mul_f64_e32 v[50:51], v[74:75], v[164:165]
	v_fma_f64 v[110:111], v[120:121], v[182:183], -v[14:15]
	v_fma_f64 v[104:105], v[124:125], v[174:175], -v[16:17]
	v_fma_f64 v[188:189], v[32:33], v[188:189], v[0:1]
	v_mul_f64_e32 v[0:1], v[82:83], v[192:193]
	scratch_load_b128 v[82:85], off, off offset:384 th:TH_LOAD_LU ; 16-byte Folded Reload
	v_fma_f64 v[197:198], v[32:33], v[190:191], -v[4:5]
	v_mul_f64_e32 v[4:5], v[102:103], v[160:161]
	v_fma_f64 v[8:9], v[66:67], v[184:185], v[8:9]
	v_fma_f64 v[64:65], v[80:81], v[192:193], v[28:29]
	v_fma_f64 v[184:185], v[66:67], v[186:187], -v[30:31]
	v_mul_f64_e32 v[32:33], v[78:79], v[154:155]
	v_fma_f64 v[102:103], v[124:125], v[172:173], v[12:13]
	v_fma_f64 v[10:11], v[56:57], v[136:137], v[44:45]
	;; [unrolled: 1-line block ×3, first 2 shown]
	v_add_f64_e64 v[124:125], v[126:127], -v[98:99]
	v_fma_f64 v[86:87], v[108:109], v[156:157], v[2:3]
	v_fma_f64 v[88:89], v[108:109], v[158:159], -v[6:7]
	v_fma_f64 v[2:3], v[76:77], v[154:155], -v[36:37]
	v_fma_f64 v[74:75], v[72:73], v[164:165], v[42:43]
	v_add_f64_e32 v[108:109], v[92:93], v[122:123]
	s_wait_loadcnt 0x2
	v_mul_f64_e32 v[46:47], v[62:63], v[142:143]
	v_mul_f64_e32 v[54:55], v[62:63], v[140:141]
	v_add_f64_e64 v[118:119], v[188:189], -v[90:91]
	v_fma_f64 v[66:67], v[80:81], v[194:195], -v[0:1]
	v_add_f64_e32 v[112:113], v[90:91], v[188:189]
	v_add_f64_e64 v[114:115], v[197:198], -v[94:95]
	v_fma_f64 v[174:175], v[100:101], v[162:163], -v[4:5]
	v_add_f64_e32 v[128:129], v[94:95], v[197:198]
	v_add_f64_e32 v[197:198], v[134:135], v[197:198]
	;; [unrolled: 1-line block ×3, first 2 shown]
	v_fma_f64 v[0:1], v[76:77], v[152:153], v[32:33]
	v_fma_f64 v[76:77], v[72:73], v[166:167], -v[50:51]
	v_add_f64_e32 v[166:167], v[64:65], v[8:9]
	v_add_f64_e64 v[100:101], v[110:111], -v[104:105]
	v_mul_f64_e32 v[22:23], s[24:25], v[124:125]
	v_add_f64_e64 v[136:137], v[172:173], -v[86:87]
	v_add_f64_e32 v[130:131], v[172:173], v[86:87]
	s_wait_alu 0xfffe
	v_mul_f64_e32 v[50:51], s[34:35], v[116:117]
	v_add_f64_e32 v[72:73], v[104:105], v[110:111]
	v_add_f64_e32 v[80:81], v[102:103], v[106:107]
	v_mul_f64_e32 v[12:13], s[36:37], v[118:119]
	v_mul_f64_e32 v[192:193], s[18:19], v[118:119]
	v_add_f64_e32 v[168:169], v[66:67], v[184:185]
	v_mul_f64_e32 v[14:15], s[36:37], v[114:115]
	v_mul_f64_e32 v[190:191], s[18:19], v[114:115]
	;; [unrolled: 1-line block ×5, first 2 shown]
	v_add_f64_e32 v[120:121], v[174:175], v[88:89]
	v_mul_f64_e32 v[20:21], s[52:53], v[100:101]
	v_mul_f64_e32 v[182:183], s[20:21], v[136:137]
	v_fma_f64 v[201:202], v[128:129], s[28:29], v[12:13]
	v_fma_f64 v[205:206], v[128:129], s[28:29], -v[12:13]
	v_mul_f64_e32 v[12:13], s[26:27], v[118:119]
	v_fma_f64 v[203:204], v[112:113], s[28:29], -v[14:15]
	v_fma_f64 v[207:208], v[112:113], s[28:29], v[14:15]
	v_fma_f64 v[36:37], v[128:129], s[8:9], v[192:193]
	v_fma_f64 v[44:45], v[128:129], s[8:9], -v[192:193]
	v_fma_f64 v[221:222], v[112:113], s[12:13], -v[16:17]
	v_fma_f64 v[229:230], v[128:129], s[10:11], v[32:33]
	v_fma_f64 v[16:17], v[112:113], s[12:13], v[16:17]
	v_fma_f64 v[32:33], v[128:129], s[10:11], -v[32:33]
	v_fma_f64 v[217:218], v[128:129], s[12:13], v[12:13]
	v_fma_f64 v[12:13], v[128:129], s[12:13], -v[12:13]
	v_add_f64_e32 v[36:37], v[134:135], v[36:37]
	v_add_f64_e32 v[44:45], v[134:135], v[44:45]
	v_add_f64_e32 v[247:248], v[132:133], v[221:222]
	v_add_f64_e32 v[229:230], v[134:135], v[229:230]
	v_add_f64_e32 v[16:17], v[132:133], v[16:17]
	v_add_f64_e32 v[32:33], v[134:135], v[32:33]
	v_add_f64_e32 v[217:218], v[134:135], v[217:218]
	v_add_f64_e32 v[12:13], v[134:135], v[12:13]
	s_wait_loadcnt 0x1
	v_mul_f64_e32 v[40:41], v[70:71], v[146:147]
	v_mul_f64_e32 v[48:49], v[70:71], v[144:145]
	v_fma_f64 v[70:71], v[60:61], v[140:141], v[46:47]
	s_wait_loadcnt 0x0
	v_mul_f64_e32 v[34:35], v[84:85], v[178:179]
	v_mul_f64_e32 v[38:39], v[84:85], v[176:177]
	v_add_f64_e64 v[84:85], v[106:107], -v[102:103]
	v_fma_f64 v[4:5], v[68:69], v[144:145], v[40:41]
	v_fma_f64 v[6:7], v[68:69], v[146:147], -v[48:49]
	v_fma_f64 v[68:69], v[60:61], v[142:143], -v[54:55]
	v_add_f64_e64 v[146:147], v[8:9], -v[64:65]
	v_add_f64_e64 v[142:143], v[184:185], -v[66:67]
	v_fma_f64 v[40:41], v[112:113], s[8:9], -v[190:191]
	v_add_f64_e32 v[48:49], v[134:135], v[201:202]
	v_add_f64_e32 v[60:61], v[134:135], v[205:206]
	;; [unrolled: 1-line block ×3, first 2 shown]
	v_fma_f64 v[190:191], v[112:113], s[8:9], v[190:191]
	v_add_f64_e32 v[184:185], v[184:185], v[197:198]
	v_add_f64_e32 v[8:9], v[8:9], v[188:189]
	v_mul_f64_e32 v[207:208], s[34:35], v[124:125]
	v_add_f64_e64 v[164:165], v[10:11], -v[70:71]
	v_add_f64_e32 v[162:163], v[70:71], v[10:11]
	v_fma_f64 v[78:79], v[82:83], v[176:177], v[34:35]
	v_fma_f64 v[176:177], v[56:57], v[138:139], -v[52:53]
	v_mul_f64_e32 v[34:35], s[24:25], v[114:115]
	v_fma_f64 v[82:83], v[82:83], v[178:179], -v[38:39]
	v_add_f64_e64 v[156:157], v[4:5], -v[74:75]
	v_add_f64_e64 v[158:159], v[6:7], -v[76:77]
	v_mul_f64_e32 v[194:195], s[22:23], v[146:147]
	v_mul_f64_e32 v[199:200], s[22:23], v[142:143]
	;; [unrolled: 1-line block ×4, first 2 shown]
	v_add_f64_e32 v[56:57], v[132:133], v[203:204]
	v_mul_f64_e32 v[215:216], s[42:43], v[146:147]
	v_mul_f64_e32 v[219:220], s[42:43], v[142:143]
	;; [unrolled: 1-line block ×4, first 2 shown]
	v_add_f64_e32 v[152:153], v[76:77], v[6:7]
	v_add_f64_e32 v[154:155], v[74:75], v[4:5]
	;; [unrolled: 1-line block ×4, first 2 shown]
	v_mul_f64_e32 v[221:222], s[36:37], v[146:147]
	v_add_f64_e32 v[8:9], v[10:11], v[8:9]
	v_fma_f64 v[10:11], v[128:129], s[2:3], v[243:244]
	v_add_f64_e64 v[138:139], v[174:175], -v[88:89]
	v_mul_f64_e32 v[52:53], s[36:37], v[136:137]
	v_mul_f64_e32 v[178:179], s[52:53], v[84:85]
	v_mul_f64_e32 v[192:193], s[24:25], v[84:85]
	v_mul_f64_e32 v[18:19], s[18:19], v[164:165]
	v_mul_f64_e32 v[205:206], s[38:39], v[164:165]
	v_add_f64_e64 v[148:149], v[0:1], -v[78:79]
	v_add_f64_e64 v[170:171], v[176:177], -v[68:69]
	v_add_f64_e32 v[160:161], v[68:69], v[176:177]
	v_fma_f64 v[231:232], v[112:113], s[10:11], -v[34:35]
	v_add_f64_e64 v[150:151], v[2:3], -v[82:83]
	v_mul_f64_e32 v[14:15], s[34:35], v[156:157]
	v_fma_f64 v[46:47], v[168:169], s[30:31], v[194:195]
	v_fma_f64 v[54:55], v[166:167], s[30:31], -v[199:200]
	v_fma_f64 v[58:59], v[168:169], s[30:31], -v[194:195]
	v_fma_f64 v[199:200], v[166:167], s[30:31], v[199:200]
	v_fma_f64 v[197:198], v[168:169], s[16:17], v[30:31]
	v_fma_f64 v[30:31], v[168:169], s[16:17], -v[30:31]
	v_mul_f64_e32 v[28:29], s[34:35], v[158:159]
	v_fma_f64 v[233:234], v[166:167], s[16:17], -v[38:39]
	v_mul_f64_e32 v[203:204], s[44:45], v[156:157]
	v_fma_f64 v[34:35], v[112:113], s[10:11], v[34:35]
	v_fma_f64 v[38:39], v[166:167], s[16:17], v[38:39]
	;; [unrolled: 1-line block ×3, first 2 shown]
	v_fma_f64 v[245:246], v[166:167], s[10:11], -v[219:220]
	v_fma_f64 v[215:216], v[168:169], s[10:11], -v[215:216]
	v_fma_f64 v[249:250], v[168:169], s[8:9], v[225:226]
	v_add_f64_e32 v[176:177], v[176:177], v[184:185]
	v_fma_f64 v[184:185], v[166:167], s[8:9], -v[227:228]
	v_add_f64_e32 v[140:141], v[82:83], v[2:3]
	v_add_f64_e32 v[144:145], v[78:79], v[0:1]
	v_mul_f64_e32 v[213:214], s[44:45], v[158:159]
	v_fma_f64 v[219:220], v[166:167], s[10:11], v[219:220]
	v_fma_f64 v[225:226], v[168:169], s[8:9], -v[225:226]
	v_mul_f64_e32 v[251:252], s[48:49], v[158:159]
	v_add_f64_e32 v[10:11], v[134:135], v[10:11]
	v_mul_f64_e32 v[24:25], s[20:21], v[138:139]
	v_add_f64_e32 v[4:5], v[4:5], v[8:9]
	v_mul_f64_e32 v[209:210], s[36:37], v[138:139]
	v_mul_f64_e32 v[194:195], s[24:25], v[100:101]
	;; [unrolled: 1-line block ×5, first 2 shown]
	v_fma_f64 v[237:238], v[160:161], s[8:9], v[18:19]
	v_fma_f64 v[18:19], v[160:161], s[8:9], -v[18:19]
	v_mul_f64_e32 v[241:242], s[34:35], v[170:171]
	v_add_f64_e32 v[46:47], v[46:47], v[48:49]
	v_add_f64_e32 v[54:55], v[54:55], v[56:57]
	;; [unrolled: 1-line block ×4, first 2 shown]
	v_mul_f64_e32 v[58:59], s[40:41], v[164:165]
	v_mul_f64_e32 v[199:200], s[40:41], v[170:171]
	;; [unrolled: 1-line block ×3, first 2 shown]
	v_add_f64_e32 v[231:232], v[132:133], v[231:232]
	v_add_f64_e32 v[36:37], v[197:198], v[36:37]
	v_fma_f64 v[197:198], v[160:161], s[2:3], v[205:206]
	v_add_f64_e32 v[30:31], v[30:31], v[44:45]
	v_fma_f64 v[205:206], v[160:161], s[2:3], -v[205:206]
	v_mul_f64_e32 v[26:27], s[26:27], v[150:151]
	v_add_f64_e32 v[40:41], v[233:234], v[40:41]
	v_mul_f64_e32 v[62:63], s[40:41], v[148:149]
	v_add_f64_e32 v[34:35], v[132:133], v[34:35]
	v_add_f64_e32 v[38:39], v[38:39], v[188:189]
	v_mul_f64_e32 v[188:189], s[18:19], v[158:159]
	v_add_f64_e32 v[190:191], v[190:191], v[217:218]
	v_add_f64_e32 v[12:13], v[215:216], v[12:13]
	;; [unrolled: 1-line block ×3, first 2 shown]
	v_mul_f64_e32 v[211:212], s[40:41], v[150:151]
	v_add_f64_e32 v[16:17], v[219:220], v[16:17]
	v_add_f64_e32 v[32:33], v[225:226], v[32:33]
	v_mul_f64_e32 v[219:220], s[42:43], v[164:165]
	v_mul_f64_e32 v[44:45], s[52:53], v[148:149]
	v_add_f64_e32 v[6:7], v[6:7], v[176:177]
	v_mul_f64_e32 v[249:250], s[36:37], v[150:151]
	v_mul_f64_e32 v[48:49], s[50:51], v[136:137]
	v_add_f64_e32 v[0:1], v[0:1], v[4:5]
	v_fma_f64 v[4:5], v[130:131], s[28:29], v[209:210]
	v_fma_f64 v[239:240], v[162:163], s[8:9], -v[42:43]
	v_fma_f64 v[42:43], v[162:163], s[8:9], v[42:43]
	v_fma_f64 v[233:234], v[162:163], s[2:3], -v[223:224]
	v_add_f64_e32 v[46:47], v[237:238], v[46:47]
	v_fma_f64 v[237:238], v[152:153], s[14:15], v[14:15]
	v_add_f64_e32 v[18:19], v[18:19], v[56:57]
	v_fma_f64 v[14:15], v[152:153], s[14:15], -v[14:15]
	v_mul_f64_e32 v[56:57], s[18:19], v[156:157]
	v_fma_f64 v[217:218], v[160:161], s[30:31], v[58:59]
	v_fma_f64 v[58:59], v[160:161], s[30:31], -v[58:59]
	v_fma_f64 v[229:230], v[160:161], s[14:15], v[201:202]
	v_add_f64_e32 v[184:185], v[184:185], v[231:232]
	v_fma_f64 v[231:232], v[162:163], s[14:15], -v[241:242]
	v_add_f64_e32 v[36:37], v[197:198], v[36:37]
	v_fma_f64 v[197:198], v[152:153], s[12:13], v[203:204]
	v_add_f64_e32 v[30:31], v[205:206], v[30:31]
	v_fma_f64 v[203:204], v[152:153], s[12:13], -v[203:204]
	v_fma_f64 v[225:226], v[144:145], s[12:13], -v[26:27]
	v_fma_f64 v[26:27], v[144:145], s[12:13], v[26:27]
	v_fma_f64 v[201:202], v[160:161], s[14:15], -v[201:202]
	v_mul_f64_e32 v[205:206], s[36:37], v[124:125]
	v_fma_f64 v[8:9], v[144:145], s[30:31], v[211:212]
	v_fma_f64 v[176:177], v[140:141], s[2:3], v[44:45]
	v_fma_f64 v[44:45], v[140:141], s[2:3], -v[44:45]
	v_add_f64_e32 v[2:3], v[2:3], v[6:7]
	v_add_f64_e32 v[0:1], v[172:173], v[0:1]
	v_fma_f64 v[172:173], v[72:73], s[10:11], v[192:193]
	v_add_f64_e32 v[54:55], v[239:240], v[54:55]
	v_fma_f64 v[239:240], v[154:155], s[14:15], -v[28:29]
	v_add_f64_e32 v[42:43], v[42:43], v[60:61]
	v_fma_f64 v[28:29], v[154:155], s[14:15], v[28:29]
	v_fma_f64 v[60:61], v[162:163], s[2:3], v[223:224]
	;; [unrolled: 1-line block ×3, first 2 shown]
	v_add_f64_e32 v[227:228], v[245:246], v[247:248]
	v_fma_f64 v[245:246], v[162:163], s[30:31], -v[199:200]
	v_mul_f64_e32 v[247:248], s[48:49], v[156:157]
	v_fma_f64 v[199:200], v[162:163], s[30:31], v[199:200]
	v_add_f64_e32 v[40:41], v[233:234], v[40:41]
	v_fma_f64 v[233:234], v[154:155], s[12:13], -v[213:214]
	v_add_f64_e32 v[46:47], v[237:238], v[46:47]
	v_fma_f64 v[237:238], v[140:141], s[12:13], v[186:187]
	v_fma_f64 v[186:187], v[140:141], s[12:13], -v[186:187]
	v_add_f64_e32 v[14:15], v[14:15], v[18:19]
	v_mul_f64_e32 v[18:19], s[52:53], v[150:151]
	v_fma_f64 v[213:214], v[154:155], s[12:13], v[213:214]
	v_add_f64_e32 v[190:191], v[217:218], v[190:191]
	v_add_f64_e32 v[12:13], v[58:59], v[12:13]
	v_fma_f64 v[58:59], v[154:155], s[8:9], -v[188:189]
	v_add_f64_e32 v[229:230], v[229:230], v[215:216]
	v_add_f64_e32 v[184:185], v[231:232], v[184:185]
	;; [unrolled: 1-line block ×3, first 2 shown]
	v_fma_f64 v[203:204], v[140:141], s[30:31], v[62:63]
	v_fma_f64 v[62:63], v[140:141], s[30:31], -v[62:63]
	v_fma_f64 v[188:189], v[154:155], s[8:9], v[188:189]
	v_add_f64_e32 v[36:37], v[197:198], v[36:37]
	v_fma_f64 v[197:198], v[154:155], s[16:17], -v[251:252]
	v_mul_f64_e32 v[217:218], s[22:23], v[156:157]
	v_add_f64_e32 v[32:33], v[201:202], v[32:33]
	v_fma_f64 v[201:202], v[154:155], s[16:17], v[251:252]
	v_mul_f64_e32 v[215:216], s[48:49], v[148:149]
	v_add_f64_e32 v[2:3], v[174:175], v[2:3]
	v_add_f64_e32 v[54:55], v[239:240], v[54:55]
	v_mul_f64_e32 v[239:240], s[50:51], v[138:139]
	v_add_f64_e32 v[28:29], v[28:29], v[42:43]
	v_fma_f64 v[42:43], v[168:169], s[28:29], v[221:222]
	v_add_f64_e32 v[34:35], v[223:224], v[34:35]
	v_add_f64_e32 v[38:39], v[60:61], v[38:39]
	v_fma_f64 v[223:224], v[152:153], s[8:9], v[56:57]
	v_add_f64_e32 v[227:228], v[245:246], v[227:228]
	v_fma_f64 v[56:57], v[152:153], s[8:9], -v[56:57]
	v_fma_f64 v[231:232], v[152:153], s[16:17], v[247:248]
	v_add_f64_e32 v[16:17], v[199:200], v[16:17]
	v_mul_f64_e32 v[199:200], s[36:37], v[148:149]
	v_add_f64_e32 v[40:41], v[233:234], v[40:41]
	v_add_f64_e32 v[46:47], v[237:238], v[46:47]
	v_fma_f64 v[237:238], v[162:163], s[14:15], v[241:242]
	v_fma_f64 v[233:234], v[120:121], s[16:17], v[182:183]
	v_add_f64_e32 v[14:15], v[186:187], v[14:15]
	v_fma_f64 v[182:183], v[120:121], s[16:17], -v[182:183]
	v_fma_f64 v[186:187], v[130:131], s[16:17], -v[24:25]
	v_fma_f64 v[24:25], v[130:131], s[16:17], v[24:25]
	v_fma_f64 v[241:242], v[152:153], s[16:17], -v[247:248]
	v_mul_f64_e32 v[245:246], s[52:53], v[136:137]
	v_mul_f64_e32 v[60:61], s[40:41], v[116:117]
	v_fma_f64 v[221:222], v[168:169], s[28:29], -v[221:222]
	v_add_f64_e32 v[30:31], v[62:63], v[30:31]
	v_add_f64_e32 v[36:37], v[203:204], v[36:37]
	v_add_f64_e32 v[197:198], v[197:198], v[184:185]
	v_fma_f64 v[203:204], v[130:131], s[28:29], -v[209:210]
	v_fma_f64 v[6:7], v[152:153], s[30:31], v[217:218]
	v_fma_f64 v[184:185], v[80:81], s[2:3], -v[20:21]
	v_mul_f64_e32 v[209:210], s[26:27], v[84:85]
	v_add_f64_e32 v[54:55], v[225:226], v[54:55]
	v_fma_f64 v[225:226], v[144:145], s[30:31], -v[211:212]
	v_add_f64_e32 v[26:27], v[26:27], v[28:29]
	v_fma_f64 v[28:29], v[160:161], s[10:11], v[219:220]
	v_add_f64_e32 v[10:11], v[42:43], v[10:11]
	v_add_f64_e32 v[38:39], v[213:214], v[38:39]
	;; [unrolled: 1-line block ×3, first 2 shown]
	v_fma_f64 v[211:212], v[144:145], s[2:3], -v[18:19]
	v_add_f64_e32 v[58:59], v[58:59], v[227:228]
	v_add_f64_e32 v[12:13], v[56:57], v[12:13]
	;; [unrolled: 1-line block ×3, first 2 shown]
	v_fma_f64 v[231:232], v[120:121], s[28:29], v[52:53]
	v_fma_f64 v[52:53], v[120:121], s[28:29], -v[52:53]
	v_mul_f64_e32 v[42:43], s[52:53], v[138:139]
	v_fma_f64 v[18:19], v[144:145], s[2:3], v[18:19]
	v_add_f64_e32 v[16:17], v[188:189], v[16:17]
	v_fma_f64 v[223:224], v[140:141], s[28:29], v[199:200]
	v_fma_f64 v[229:230], v[144:145], s[28:29], -v[249:250]
	v_add_f64_e32 v[34:35], v[237:238], v[34:35]
	v_fma_f64 v[56:57], v[96:97], s[10:11], v[180:181]
	v_fma_f64 v[180:181], v[96:97], s[10:11], -v[180:181]
	v_add_f64_e32 v[14:15], v[182:183], v[14:15]
	v_fma_f64 v[188:189], v[108:109], s[10:11], -v[22:23]
	v_fma_f64 v[22:23], v[108:109], s[10:11], v[22:23]
	v_add_f64_e32 v[46:47], v[233:234], v[46:47]
	v_fma_f64 v[62:63], v[130:131], s[14:15], -v[239:240]
	v_fma_f64 v[199:200], v[140:141], s[28:29], -v[199:200]
	v_add_f64_e32 v[32:33], v[241:242], v[32:33]
	v_mul_f64_e32 v[213:214], s[18:19], v[136:137]
	v_mul_f64_e32 v[233:234], s[42:43], v[170:171]
	;; [unrolled: 1-line block ×3, first 2 shown]
	v_add_f64_e32 v[54:55], v[186:187], v[54:55]
	v_add_f64_e32 v[40:41], v[225:226], v[40:41]
	;; [unrolled: 1-line block ×3, first 2 shown]
	v_fma_f64 v[225:226], v[96:97], s[14:15], v[50:51]
	v_add_f64_e32 v[10:11], v[28:29], v[10:11]
	v_add_f64_e32 v[8:9], v[8:9], v[38:39]
	v_fma_f64 v[28:29], v[120:121], s[14:15], v[48:49]
	v_add_f64_e32 v[38:39], v[176:177], v[190:191]
	v_add_f64_e32 v[58:59], v[211:212], v[58:59]
	v_fma_f64 v[48:49], v[120:121], s[14:15], -v[48:49]
	v_add_f64_e32 v[12:13], v[44:45], v[12:13]
	v_fma_f64 v[50:51], v[96:97], s[14:15], -v[50:51]
	v_add_f64_e32 v[30:31], v[52:53], v[30:31]
	v_fma_f64 v[186:187], v[72:73], s[2:3], v[178:179]
	v_fma_f64 v[44:45], v[130:131], s[14:15], v[239:240]
	v_add_f64_e32 v[16:17], v[18:19], v[16:17]
	v_fma_f64 v[18:19], v[120:121], s[2:3], v[245:246]
	v_add_f64_e32 v[211:212], v[223:224], v[227:228]
	v_fma_f64 v[176:177], v[72:73], s[2:3], -v[178:179]
	v_fma_f64 v[223:224], v[130:131], s[2:3], -v[42:43]
	v_add_f64_e32 v[197:198], v[229:230], v[197:198]
	v_add_f64_e32 v[36:37], v[231:232], v[36:37]
	v_fma_f64 v[178:179], v[80:81], s[2:3], v[20:21]
	v_fma_f64 v[20:21], v[144:145], s[28:29], v[249:250]
	v_add_f64_e32 v[34:35], v[201:202], v[34:35]
	v_fma_f64 v[201:202], v[108:109], s[14:15], -v[207:208]
	v_mul_f64_e32 v[26:27], s[40:41], v[124:125]
	v_add_f64_e32 v[180:181], v[180:181], v[14:15]
	v_fma_f64 v[14:15], v[140:141], s[16:17], v[215:216]
	v_add_f64_e32 v[190:191], v[56:57], v[46:47]
	v_fma_f64 v[52:53], v[96:97], s[28:29], -v[235:236]
	v_add_f64_e32 v[32:33], v[199:200], v[32:33]
	v_add_f64_e32 v[227:228], v[122:123], v[0:1]
	v_mul_f64_e32 v[229:230], s[40:41], v[114:115]
	v_mul_f64_e32 v[231:232], s[48:49], v[114:115]
	v_fma_f64 v[0:1], v[72:73], s[12:13], v[209:210]
	v_add_f64_e32 v[188:189], v[188:189], v[54:55]
	v_add_f64_e32 v[40:41], v[203:204], v[40:41]
	;; [unrolled: 1-line block ×3, first 2 shown]
	v_fma_f64 v[22:23], v[96:97], s[28:29], v[235:236]
	v_add_f64_e32 v[6:7], v[6:7], v[10:11]
	v_mul_f64_e32 v[54:55], s[38:39], v[114:115]
	v_fma_f64 v[10:11], v[108:109], s[14:15], v[207:208]
	v_add_f64_e32 v[24:25], v[28:29], v[38:39]
	v_mul_f64_e32 v[28:29], s[20:21], v[100:101]
	v_add_f64_e32 v[46:47], v[62:63], v[58:59]
	v_add_f64_e32 v[12:13], v[48:49], v[12:13]
	v_fma_f64 v[62:63], v[120:121], s[2:3], -v[245:246]
	v_add_f64_e32 v[199:200], v[50:51], v[30:31]
	v_add_f64_e32 v[50:51], v[126:127], v[2:3]
	;; [unrolled: 1-line block ×3, first 2 shown]
	v_fma_f64 v[38:39], v[108:109], s[28:29], -v[205:206]
	v_fma_f64 v[48:49], v[108:109], s[28:29], v[205:206]
	v_add_f64_e32 v[16:17], v[44:45], v[16:17]
	v_fma_f64 v[44:45], v[96:97], s[30:31], v[60:61]
	v_add_f64_e32 v[18:19], v[18:19], v[211:212]
	v_add_f64_e32 v[58:59], v[223:224], v[197:198]
	;; [unrolled: 1-line block ×3, first 2 shown]
	v_fma_f64 v[36:37], v[130:131], s[2:3], v[42:43]
	v_mul_f64_e32 v[42:43], s[48:49], v[118:119]
	v_add_f64_e32 v[20:21], v[20:21], v[34:35]
	v_mul_f64_e32 v[34:35], s[50:51], v[118:119]
	v_mul_f64_e32 v[223:224], s[40:41], v[118:119]
	v_fma_f64 v[56:57], v[108:109], s[30:31], -v[26:27]
	v_fma_f64 v[225:226], v[120:121], s[8:9], v[213:214]
	v_fma_f64 v[205:206], v[80:81], s[10:11], -v[194:195]
	v_fma_f64 v[197:198], v[72:73], s[10:11], -v[192:193]
	v_mul_f64_e32 v[30:31], s[44:45], v[116:117]
	v_mul_f64_e32 v[8:9], s[20:21], v[84:85]
	;; [unrolled: 1-line block ×3, first 2 shown]
	v_fma_f64 v[26:27], v[108:109], s[30:31], v[26:27]
	v_add_f64_e32 v[207:208], v[201:202], v[40:41]
	v_mul_f64_e32 v[40:41], s[50:51], v[114:115]
	v_fma_f64 v[201:202], v[80:81], s[10:11], v[194:195]
	v_add_f64_e32 v[14:15], v[14:15], v[6:7]
	v_add_f64_e32 v[192:193], v[22:23], v[24:25]
	v_fma_f64 v[114:115], v[80:81], s[16:17], -v[28:29]
	v_mul_f64_e32 v[22:23], s[36:37], v[142:143]
	v_add_f64_e32 v[194:195], v[52:53], v[12:13]
	v_fma_f64 v[12:13], v[112:113], s[2:3], -v[54:55]
	v_fma_f64 v[2:3], v[80:81], s[16:17], v[28:29]
	v_add_f64_e32 v[28:29], v[62:63], v[32:33]
	v_add_f64_e32 v[50:51], v[110:111], v[50:51]
	;; [unrolled: 1-line block ×6, first 2 shown]
	v_fma_f64 v[16:17], v[128:129], s[2:3], -v[243:244]
	v_add_f64_e32 v[6:7], v[44:45], v[18:19]
	v_fma_f64 v[24:25], v[112:113], s[2:3], v[54:55]
	v_mul_f64_e32 v[32:33], s[26:27], v[146:147]
	v_fma_f64 v[38:39], v[128:129], s[16:17], -v[42:43]
	v_add_f64_e32 v[20:21], v[36:37], v[20:21]
	v_mul_f64_e32 v[36:37], s[38:39], v[146:147]
	v_fma_f64 v[44:45], v[128:129], s[14:15], -v[34:35]
	v_mul_f64_e32 v[46:47], s[38:39], v[142:143]
	v_mul_f64_e32 v[52:53], s[50:51], v[146:147]
	v_fma_f64 v[54:55], v[128:129], s[30:31], -v[223:224]
	v_mul_f64_e32 v[106:107], s[50:51], v[142:143]
	v_fma_f64 v[110:111], v[112:113], s[30:31], v[229:230]
	v_add_f64_e32 v[10:11], v[56:57], v[58:59]
	v_mul_f64_e32 v[58:59], s[26:27], v[142:143]
	v_fma_f64 v[146:147], v[112:113], s[16:17], v[231:232]
	v_fma_f64 v[42:43], v[128:129], s[16:17], v[42:43]
	v_fma_f64 v[227:228], v[112:113], s[16:17], -v[231:232]
	v_fma_f64 v[34:35], v[128:129], s[14:15], v[34:35]
	v_fma_f64 v[128:129], v[128:129], s[30:31], v[223:224]
	v_mul_f64_e32 v[231:232], s[18:19], v[138:139]
	v_fma_f64 v[48:49], v[112:113], s[14:15], v[40:41]
	v_fma_f64 v[40:41], v[112:113], s[14:15], -v[40:41]
	v_fma_f64 v[112:113], v[112:113], s[30:31], -v[229:230]
	v_add_f64_e32 v[14:15], v[225:226], v[14:15]
	v_mul_f64_e32 v[225:226], s[44:45], v[124:125]
	s_mov_b32 s45, 0x3fc7851a
	s_mov_b32 s44, s36
	v_fma_f64 v[235:236], v[166:167], s[28:29], -v[22:23]
	s_wait_alu 0xfffe
	v_mul_f64_e32 v[223:224], s[44:45], v[164:165]
	v_add_f64_e32 v[12:13], v[132:133], v[12:13]
	v_mul_f64_e32 v[245:246], s[44:45], v[170:171]
	v_fma_f64 v[22:23], v[166:167], s[28:29], v[22:23]
	v_add_f64_e32 v[50:51], v[104:105], v[50:51]
	v_add_f64_e32 v[62:63], v[102:103], v[62:63]
	v_mul_f64_e32 v[104:105], s[48:49], v[164:165]
	v_mul_f64_e32 v[164:165], s[48:49], v[170:171]
	;; [unrolled: 1-line block ×3, first 2 shown]
	v_add_f64_e32 v[16:17], v[134:135], v[16:17]
	v_fma_f64 v[18:19], v[96:97], s[30:31], -v[60:61]
	v_add_f64_e32 v[24:25], v[132:133], v[24:25]
	v_fma_f64 v[229:230], v[168:169], s[12:13], v[32:33]
	v_fma_f64 v[32:33], v[168:169], s[12:13], -v[32:33]
	v_add_f64_e32 v[38:39], v[134:135], v[38:39]
	v_fma_f64 v[239:240], v[168:169], s[2:3], -v[36:37]
	v_add_f64_e32 v[44:45], v[134:135], v[44:45]
	v_fma_f64 v[241:242], v[166:167], s[2:3], v[46:47]
	v_fma_f64 v[243:244], v[168:169], s[14:15], -v[52:53]
	v_add_f64_e32 v[54:55], v[134:135], v[54:55]
	v_fma_f64 v[102:103], v[166:167], s[14:15], v[106:107]
	v_add_f64_e32 v[110:111], v[132:133], v[110:111]
	v_fma_f64 v[36:37], v[168:169], s[2:3], v[36:37]
	v_fma_f64 v[247:248], v[166:167], s[12:13], v[58:59]
	v_add_f64_e32 v[146:147], v[132:133], v[146:147]
	v_add_f64_e32 v[42:43], v[134:135], v[42:43]
	v_fma_f64 v[58:59], v[166:167], s[12:13], -v[58:59]
	v_add_f64_e32 v[227:228], v[132:133], v[227:228]
	v_add_f64_e32 v[34:35], v[134:135], v[34:35]
	v_fma_f64 v[46:47], v[166:167], s[2:3], -v[46:47]
	v_add_f64_e32 v[48:49], v[132:133], v[48:49]
	v_add_f64_e32 v[40:41], v[132:133], v[40:41]
	v_fma_f64 v[52:53], v[168:169], s[14:15], v[52:53]
	v_add_f64_e32 v[128:129], v[134:135], v[128:129]
	v_fma_f64 v[106:107], v[166:167], s[14:15], -v[106:107]
	v_add_f64_e32 v[112:113], v[132:133], v[112:113]
	v_mul_f64_e32 v[134:135], s[22:23], v[158:159]
	v_fma_f64 v[132:133], v[162:163], s[10:11], -v[233:234]
	v_fma_f64 v[166:167], v[160:161], s[10:11], -v[219:220]
	v_add_f64_e32 v[12:13], v[235:236], v[12:13]
	v_fma_f64 v[219:220], v[162:163], s[10:11], v[233:234]
	v_mul_f64_e32 v[233:234], s[42:43], v[158:159]
	v_add_f64_e32 v[50:51], v[98:99], v[50:51]
	v_add_f64_e32 v[62:63], v[92:93], v[62:63]
	v_fma_f64 v[235:236], v[160:161], s[28:29], -v[223:224]
	v_fma_f64 v[98:99], v[160:161], s[16:17], -v[104:105]
	v_fma_f64 v[92:93], v[162:163], s[16:17], v[164:165]
	v_add_f64_e32 v[16:17], v[221:222], v[16:17]
	v_mul_f64_e32 v[221:222], s[42:43], v[156:157]
	v_add_f64_e32 v[22:23], v[22:23], v[24:25]
	v_fma_f64 v[24:25], v[160:161], s[28:29], v[223:224]
	v_fma_f64 v[223:224], v[162:163], s[28:29], -v[245:246]
	v_add_f64_e32 v[32:33], v[32:33], v[38:39]
	v_mul_f64_e32 v[38:39], s[36:37], v[156:157]
	v_add_f64_e32 v[44:45], v[239:240], v[44:45]
	v_mul_f64_e32 v[239:240], s[36:37], v[158:159]
	v_mul_f64_e32 v[156:157], s[38:39], v[156:157]
	v_add_f64_e32 v[54:55], v[243:244], v[54:55]
	v_mul_f64_e32 v[158:159], s[38:39], v[158:159]
	v_add_f64_e32 v[102:103], v[102:103], v[110:111]
	v_fma_f64 v[110:111], v[162:163], s[12:13], v[170:171]
	v_fma_f64 v[243:244], v[162:163], s[28:29], v[245:246]
	v_add_f64_e32 v[146:147], v[247:248], v[146:147]
	v_add_f64_e32 v[42:43], v[229:230], v[42:43]
	v_mul_f64_e32 v[168:169], s[48:49], v[150:151]
	v_add_f64_e32 v[58:59], v[58:59], v[227:228]
	v_fma_f64 v[227:228], v[160:161], s[12:13], v[237:238]
	v_add_f64_e32 v[34:35], v[36:37], v[34:35]
	v_add_f64_e32 v[48:49], v[241:242], v[48:49]
	v_fma_f64 v[241:242], v[160:161], s[12:13], -v[237:238]
	v_fma_f64 v[36:37], v[162:163], s[12:13], -v[170:171]
	v_add_f64_e32 v[40:41], v[46:47], v[40:41]
	v_fma_f64 v[46:47], v[160:161], s[16:17], v[104:105]
	v_add_f64_e32 v[52:53], v[52:53], v[128:129]
	v_fma_f64 v[104:105], v[162:163], s[16:17], -v[164:165]
	v_add_f64_e32 v[106:107], v[106:107], v[112:113]
	v_fma_f64 v[112:113], v[154:155], s[30:31], -v[134:135]
	;; [unrolled: 2-line block ×3, first 2 shown]
	v_fma_f64 v[132:133], v[154:155], s[30:31], v[134:135]
	v_add_f64_e32 v[50:51], v[88:89], v[50:51]
	v_add_f64_e32 v[62:63], v[86:87], v[62:63]
	v_mul_f64_e32 v[134:135], s[34:35], v[148:149]
	v_mul_f64_e32 v[160:161], s[34:35], v[150:151]
	;; [unrolled: 1-line block ×3, first 2 shown]
	v_add_f64_e32 v[16:17], v[166:167], v[16:17]
	v_fma_f64 v[162:163], v[152:153], s[10:11], -v[221:222]
	v_mul_f64_e32 v[166:167], s[46:47], v[148:149]
	v_mul_f64_e32 v[148:149], s[24:25], v[148:149]
	;; [unrolled: 1-line block ×3, first 2 shown]
	v_add_f64_e32 v[32:33], v[235:236], v[32:33]
	v_fma_f64 v[217:218], v[152:153], s[28:29], -v[38:39]
	v_fma_f64 v[164:165], v[154:155], s[10:11], v[233:234]
	v_fma_f64 v[229:230], v[154:155], s[28:29], v[239:240]
	v_fma_f64 v[235:236], v[152:153], s[2:3], -v[156:157]
	v_add_f64_e32 v[54:55], v[98:99], v[54:55]
	v_fma_f64 v[98:99], v[154:155], s[2:3], v[158:159]
	v_add_f64_e32 v[86:87], v[92:93], v[102:103]
	v_add_f64_e32 v[22:23], v[219:220], v[22:23]
	v_fma_f64 v[92:93], v[152:153], s[10:11], v[221:222]
	v_add_f64_e32 v[88:89], v[243:244], v[146:147]
	v_add_f64_e32 v[24:25], v[24:25], v[42:43]
	v_fma_f64 v[42:43], v[154:155], s[10:11], -v[233:234]
	v_add_f64_e32 v[58:59], v[223:224], v[58:59]
	v_fma_f64 v[38:39], v[152:153], s[28:29], v[38:39]
	v_add_f64_e32 v[34:35], v[227:228], v[34:35]
	v_add_f64_e32 v[48:49], v[110:111], v[48:49]
	;; [unrolled: 1-line block ×3, first 2 shown]
	v_fma_f64 v[102:103], v[154:155], s[28:29], -v[239:240]
	v_add_f64_e32 v[36:37], v[36:37], v[40:41]
	v_fma_f64 v[40:41], v[152:153], s[2:3], v[156:157]
	v_add_f64_e32 v[46:47], v[46:47], v[52:53]
	v_fma_f64 v[52:53], v[154:155], s[2:3], -v[158:159]
	v_add_f64_e32 v[104:105], v[104:105], v[106:107]
	v_fma_f64 v[106:107], v[144:145], s[16:17], -v[168:169]
	;; [unrolled: 2-line block ×3, first 2 shown]
	v_mul_f64_e32 v[146:147], s[40:41], v[138:139]
	v_add_f64_e32 v[50:51], v[82:83], v[50:51]
	v_add_f64_e32 v[62:63], v[78:79], v[62:63]
	v_fma_f64 v[152:153], v[140:141], s[14:15], -v[134:135]
	v_mul_f64_e32 v[156:157], s[42:43], v[136:137]
	v_mul_f64_e32 v[158:159], s[42:43], v[138:139]
	v_add_f64_e32 v[16:17], v[128:129], v[16:17]
	v_mul_f64_e32 v[128:129], s[40:41], v[136:137]
	v_mul_f64_e32 v[136:137], s[26:27], v[136:137]
	;; [unrolled: 1-line block ×3, first 2 shown]
	v_fma_f64 v[215:216], v[140:141], s[10:11], -v[148:149]
	v_add_f64_e32 v[32:33], v[162:163], v[32:33]
	v_fma_f64 v[162:163], v[140:141], s[8:9], -v[166:167]
	v_fma_f64 v[112:113], v[144:145], s[16:17], v[168:169]
	v_fma_f64 v[168:169], v[144:145], s[8:9], v[170:171]
	;; [unrolled: 1-line block ×3, first 2 shown]
	v_add_f64_e32 v[54:55], v[235:236], v[54:55]
	v_mul_f64_e32 v[56:57], s[34:35], v[84:85]
	v_add_f64_e32 v[78:79], v[98:99], v[86:87]
	v_add_f64_e32 v[22:23], v[132:133], v[22:23]
	v_fma_f64 v[86:87], v[140:141], s[14:15], v[134:135]
	v_add_f64_e32 v[82:83], v[164:165], v[88:89]
	v_add_f64_e32 v[24:25], v[92:93], v[24:25]
	v_fma_f64 v[88:89], v[144:145], s[14:15], -v[160:161]
	v_add_f64_e32 v[42:43], v[42:43], v[58:59]
	v_fma_f64 v[58:59], v[140:141], s[8:9], v[166:167]
	v_add_f64_e32 v[34:35], v[38:39], v[34:35]
	v_add_f64_e32 v[48:49], v[229:230], v[48:49]
	;; [unrolled: 1-line block ×3, first 2 shown]
	v_fma_f64 v[217:218], v[144:145], s[10:11], v[150:151]
	v_fma_f64 v[38:39], v[144:145], s[8:9], -v[170:171]
	v_add_f64_e32 v[36:37], v[102:103], v[36:37]
	v_fma_f64 v[92:93], v[140:141], s[10:11], v[148:149]
	v_add_f64_e32 v[40:41], v[40:41], v[46:47]
	v_fma_f64 v[46:47], v[144:145], s[10:11], -v[150:151]
	v_add_f64_e32 v[52:53], v[52:53], v[104:105]
	v_fma_f64 v[98:99], v[130:131], s[8:9], -v[231:232]
	;; [unrolled: 2-line block ×3, first 2 shown]
	v_add_f64_e32 v[50:51], v[76:77], v[50:51]
	v_add_f64_e32 v[62:63], v[74:75], v[62:63]
	v_mul_f64_e32 v[106:107], s[38:39], v[116:117]
	v_mul_f64_e32 v[140:141], s[20:21], v[116:117]
	;; [unrolled: 1-line block ×3, first 2 shown]
	v_add_f64_e32 v[16:17], v[110:111], v[16:17]
	v_mul_f64_e32 v[110:111], s[38:39], v[124:125]
	v_fma_f64 v[132:133], v[120:121], s[30:31], -v[128:129]
	v_fma_f64 v[148:149], v[120:121], s[10:11], -v[156:157]
	v_mul_f64_e32 v[116:117], s[18:19], v[116:117]
	v_add_f64_e32 v[32:33], v[152:153], v[32:33]
	v_mul_f64_e32 v[124:125], s[18:19], v[124:125]
	v_fma_f64 v[152:153], v[120:121], s[12:13], -v[136:137]
	v_fma_f64 v[160:161], v[130:131], s[12:13], v[138:139]
	v_fma_f64 v[150:151], v[130:131], s[10:11], v[158:159]
	v_add_f64_e32 v[54:55], v[215:216], v[54:55]
	v_fma_f64 v[134:135], v[130:131], s[30:31], v[146:147]
	v_fma_f64 v[104:105], v[130:131], s[8:9], v[231:232]
	v_add_f64_e32 v[22:23], v[112:113], v[22:23]
	v_mul_f64_e32 v[142:143], s[34:35], v[100:101]
	v_add_f64_e32 v[76:77], v[154:155], v[82:83]
	v_add_f64_e32 v[24:25], v[86:87], v[24:25]
	v_fma_f64 v[82:83], v[130:131], s[30:31], -v[146:147]
	v_add_f64_e32 v[42:43], v[88:89], v[42:43]
	v_fma_f64 v[86:87], v[120:121], s[10:11], v[156:157]
	v_add_f64_e32 v[34:35], v[58:59], v[34:35]
	v_add_f64_e32 v[48:49], v[168:169], v[48:49]
	;; [unrolled: 1-line block ×4, first 2 shown]
	v_fma_f64 v[78:79], v[120:121], s[30:31], v[128:129]
	v_fma_f64 v[58:59], v[130:131], s[10:11], -v[158:159]
	v_add_f64_e32 v[36:37], v[38:39], v[36:37]
	v_fma_f64 v[38:39], v[120:121], s[12:13], v[136:137]
	v_add_f64_e32 v[40:41], v[92:93], v[40:41]
	v_fma_f64 v[88:89], v[130:131], s[12:13], -v[138:139]
	v_add_f64_e32 v[46:47], v[46:47], v[52:53]
	v_fma_f64 v[52:53], v[108:109], s[12:13], -v[225:226]
	v_add_f64_e32 v[12:13], v[98:99], v[12:13]
	v_add_f64_e32 v[50:51], v[68:69], v[50:51]
	;; [unrolled: 1-line block ×3, first 2 shown]
	v_mul_f64_e32 v[98:99], s[18:19], v[84:85]
	v_mul_f64_e32 v[146:147], s[18:19], v[100:101]
	v_mul_f64_e32 v[154:155], s[22:23], v[84:85]
	v_add_f64_e32 v[16:17], v[102:103], v[16:17]
	v_fma_f64 v[102:103], v[96:97], s[2:3], -v[106:107]
	v_mul_f64_e32 v[156:157], s[22:23], v[100:101]
	v_fma_f64 v[136:137], v[96:97], s[16:17], -v[140:141]
	v_mul_f64_e32 v[84:85], s[36:37], v[84:85]
	v_add_f64_e32 v[32:33], v[132:133], v[32:33]
	v_fma_f64 v[60:61], v[96:97], s[12:13], v[30:31]
	v_fma_f64 v[30:31], v[96:97], s[12:13], -v[30:31]
	v_fma_f64 v[138:139], v[108:109], s[16:17], v[144:145]
	v_fma_f64 v[130:131], v[108:109], s[2:3], v[110:111]
	v_add_f64_e32 v[54:55], v[152:153], v[54:55]
	v_fma_f64 v[152:153], v[108:109], s[8:9], v[124:125]
	v_fma_f64 v[92:93], v[108:109], s[12:13], v[225:226]
	v_add_f64_e32 v[22:23], v[104:105], v[22:23]
	v_add_f64_e32 v[18:19], v[18:19], v[28:29]
	;; [unrolled: 1-line block ×3, first 2 shown]
	v_fma_f64 v[76:77], v[108:109], s[2:3], -v[110:111]
	v_fma_f64 v[112:113], v[80:81], s[14:15], -v[142:143]
	v_add_f64_e32 v[42:43], v[82:83], v[42:43]
	v_fma_f64 v[82:83], v[108:109], s[16:17], -v[144:145]
	v_add_f64_e32 v[34:35], v[86:87], v[34:35]
	v_add_f64_e32 v[48:49], v[150:151], v[48:49]
	;; [unrolled: 1-line block ×3, first 2 shown]
	v_mul_f64_e32 v[148:149], s[36:37], v[100:101]
	v_fma_f64 v[100:101], v[96:97], s[8:9], -v[116:117]
	v_add_f64_e32 v[68:69], v[160:161], v[74:75]
	v_fma_f64 v[74:75], v[96:97], s[2:3], v[106:107]
	v_add_f64_e32 v[24:25], v[78:79], v[24:25]
	v_fma_f64 v[78:79], v[96:97], s[16:17], v[140:141]
	;; [unrolled: 2-line block ×3, first 2 shown]
	v_add_f64_e32 v[38:39], v[38:39], v[40:41]
	v_fma_f64 v[40:41], v[108:109], s[8:9], -v[124:125]
	v_add_f64_e32 v[46:47], v[88:89], v[46:47]
	v_add_f64_e32 v[116:117], v[52:53], v[12:13]
	;; [unrolled: 1-line block ×4, first 2 shown]
	v_fma_f64 v[128:129], v[80:81], s[14:15], v[142:143]
	v_fma_f64 v[126:127], v[72:73], s[16:17], -v[8:9]
	v_fma_f64 v[150:151], v[72:73], s[12:13], -v[209:210]
	v_add_f64_e32 v[124:125], v[26:27], v[20:21]
	v_fma_f64 v[26:27], v[72:73], s[8:9], -v[98:99]
	v_fma_f64 v[144:145], v[72:73], s[28:29], -v[84:85]
	v_add_f64_e32 v[28:29], v[102:103], v[32:33]
	v_fma_f64 v[132:133], v[80:81], s[8:9], v[146:147]
	v_add_f64_e32 v[16:17], v[30:31], v[16:17]
	v_fma_f64 v[30:31], v[72:73], s[30:31], -v[154:155]
	v_fma_f64 v[20:21], v[72:73], s[14:15], -v[56:57]
	v_fma_f64 v[120:121], v[80:81], s[12:13], v[211:212]
	v_fma_f64 v[118:119], v[72:73], s[16:17], v[8:9]
	v_fma_f64 v[8:9], v[80:81], s[12:13], -v[211:212]
	v_fma_f64 v[108:109], v[72:73], s[14:15], v[56:57]
	v_add_f64_e32 v[110:111], v[60:61], v[14:15]
	v_add_f64_e32 v[134:135], v[130:131], v[70:71]
	;; [unrolled: 1-line block ×3, first 2 shown]
	v_fma_f64 v[104:105], v[80:81], s[8:9], -v[146:147]
	v_add_f64_e32 v[106:107], v[76:77], v[42:43]
	v_fma_f64 v[88:89], v[72:73], s[30:31], v[154:155]
	v_fma_f64 v[96:97], v[80:81], s[30:31], -v[156:157]
	v_add_f64_e32 v[138:139], v[138:139], v[48:49]
	v_add_f64_e32 v[32:33], v[136:137], v[44:45]
	v_fma_f64 v[140:141], v[80:81], s[28:29], v[148:149]
	v_add_f64_e32 v[44:45], v[100:101], v[54:55]
	v_add_f64_e32 v[142:143], v[152:153], v[68:69]
	v_fma_f64 v[136:137], v[80:81], s[30:31], v[156:157]
	v_fma_f64 v[100:101], v[72:73], s[8:9], v[98:99]
	v_add_f64_e32 v[102:103], v[74:75], v[24:25]
	v_add_f64_e32 v[92:93], v[78:79], v[34:35]
	;; [unrolled: 1-line block ×3, first 2 shown]
	v_fma_f64 v[82:83], v[72:73], s[28:29], v[84:85]
	v_add_f64_e32 v[84:85], v[58:59], v[38:39]
	v_fma_f64 v[80:81], v[80:81], s[28:29], -v[148:149]
	v_add_f64_e32 v[86:87], v[40:41], v[46:47]
	v_add_f64_e32 v[162:163], v[94:95], v[50:51]
	v_add_f64_e32 v[160:161], v[90:91], v[52:53]
	v_add_f64_e32 v[12:13], v[114:115], v[122:123]
	v_add_f64_e32 v[122:123], v[126:127], v[194:195]
	v_add_f64_e32 v[126:127], v[150:151], v[18:19]
	v_add_f64_e32 v[78:79], v[197:198], v[199:200]
	v_add_f64_e32 v[76:77], v[201:202], v[203:204]
	v_add_f64_e32 v[70:71], v[176:177], v[180:181]
	v_add_f64_e32 v[150:151], v[26:27], v[28:29]
	v_add_f64_e32 v[68:69], v[178:179], v[182:183]
	v_add_f64_e32 v[66:67], v[186:187], v[190:191]
	v_add_f64_e32 v[64:65], v[184:185], v[188:189]
	v_add_f64_e32 v[146:147], v[20:21], v[16:17]
	v_add_f64_e32 v[124:125], v[120:121], v[124:125]
	v_add_f64_e32 v[120:121], v[2:3], v[4:5]
	v_add_f64_e32 v[74:75], v[172:173], v[174:175]
	v_add_f64_e32 v[72:73], v[205:206], v[207:208]
	v_add_f64_e32 v[14:15], v[118:119], v[192:193]
	v_add_f64_e32 v[148:149], v[132:133], v[134:135]
	v_add_f64_e32 v[2:3], v[0:1], v[6:7]
	v_add_f64_e32 v[0:1], v[8:9], v[10:11]
	v_add_f64_e32 v[6:7], v[108:109], v[110:111]
	v_add_f64_e32 v[4:5], v[112:113], v[116:117]
	v_add_f64_e32 v[8:9], v[104:105], v[106:107]
	v_mov_b32_e32 v239, v196
	v_add_f64_e32 v[154:155], v[30:31], v[32:33]
	v_lshl_add_u32 v16, v253, 4, v254
	v_add_f64_e32 v[158:159], v[144:145], v[44:45]
	v_add_f64_e32 v[156:157], v[140:141], v[142:143]
	v_add_f64_e32 v[152:153], v[136:137], v[138:139]
	v_add_f64_e32 v[144:145], v[128:129], v[130:131]
	v_add_f64_e32 v[10:11], v[100:101], v[102:103]
	v_add_f64_e32 v[90:91], v[88:89], v[92:93]
	v_add_f64_e32 v[88:89], v[96:97], v[98:99]
	v_add_f64_e32 v[82:83], v[82:83], v[84:85]
	v_add_f64_e32 v[80:81], v[80:81], v[86:87]
	ds_store_b128 v255, v[160:163]
	ds_store_b128 v16, v[156:159] offset:256
	ds_store_b128 v16, v[152:155] offset:512
	ds_store_b128 v16, v[148:151] offset:768
	ds_store_b128 v16, v[144:147] offset:1024
	ds_store_b128 v16, v[124:127] offset:1280
	ds_store_b128 v16, v[120:123] offset:1536
	ds_store_b128 v16, v[76:79] offset:1792
	ds_store_b128 v16, v[68:71] offset:2048
	ds_store_b128 v16, v[64:67] offset:2304
	ds_store_b128 v16, v[72:75] offset:2560
	ds_store_b128 v16, v[12:15] offset:2816
	ds_store_b128 v16, v[0:3] offset:3072
	ds_store_b128 v16, v[4:7] offset:3328
	ds_store_b128 v16, v[8:11] offset:3584
	ds_store_b128 v16, v[88:91] offset:3840
	ds_store_b128 v16, v[80:83] offset:4096
.LBB0_9:
	s_or_b32 exec_lo, exec_lo, s33
	global_wb scope:SCOPE_SE
	s_wait_dscnt 0x0
	s_barrier_signal -1
	s_barrier_wait -1
	global_inv scope:SCOPE_SE
	ds_load_b128 v[0:3], v255
	ds_load_b128 v[4:7], v255 offset:272
	ds_load_b128 v[8:11], v255 offset:544
	ds_load_b128 v[12:15], v255 offset:816
	ds_load_b128 v[64:67], v255 offset:1088
	ds_load_b128 v[68:71], v255 offset:1360
	s_clause 0x1
	scratch_load_b128 v[54:57], off, off th:TH_LOAD_LU
	scratch_load_b128 v[116:119], off, off offset:80 th:TH_LOAD_LU
	ds_load_b128 v[72:75], v255 offset:1632
	ds_load_b128 v[76:79], v255 offset:1904
	v_mad_co_u64_u32 v[36:37], null, s6, v239, 0
	v_mad_co_u64_u32 v[38:39], null, s4, v253, 0
	s_mov_b32 s2, 0x1e1e1e1e
	s_mov_b32 s3, 0x3f6e1e1e
	s_mul_u64 s[8:9], s[4:5], 0x110
	s_delay_alu instid0(VALU_DEP_1) | instskip(NEXT) | instid1(VALU_DEP_1)
	v_mad_co_u64_u32 v[40:41], null, s7, v239, v[37:38]
	v_mad_co_u64_u32 v[41:42], null, s5, v253, v[39:40]
	v_mov_b32_e32 v37, v40
	s_delay_alu instid0(VALU_DEP_2) | instskip(NEXT) | instid1(VALU_DEP_1)
	v_mov_b32_e32 v39, v41
	v_lshlrev_b64_e32 v[38:39], 4, v[38:39]
	s_wait_loadcnt_dscnt 0x107
	v_mul_f64_e32 v[16:17], v[56:57], v[2:3]
	v_mul_f64_e32 v[18:19], v[56:57], v[0:1]
	scratch_load_b128 v[56:59], off, off offset:16 th:TH_LOAD_LU ; 16-byte Folded Reload
	s_wait_loadcnt_dscnt 0x103
	v_mul_f64_e32 v[32:33], v[118:119], v[66:67]
	v_mul_f64_e32 v[34:35], v[118:119], v[64:65]
	v_fma_f64 v[0:1], v[54:55], v[0:1], v[16:17]
	v_fma_f64 v[2:3], v[54:55], v[2:3], -v[18:19]
	v_lshlrev_b64_e32 v[18:19], 4, v[36:37]
	v_fma_f64 v[16:17], v[116:117], v[64:65], v[32:33]
	s_delay_alu instid0(VALU_DEP_2) | instskip(SKIP_1) | instid1(VALU_DEP_3)
	v_add_co_u32 v18, vcc_lo, s0, v18
	s_wait_alu 0xfffd
	v_add_co_ci_u32_e32 v19, vcc_lo, s1, v19, vcc_lo
	s_delay_alu instid0(VALU_DEP_2) | instskip(SKIP_1) | instid1(VALU_DEP_2)
	v_add_co_u32 v38, vcc_lo, v18, v38
	s_wait_alu 0xfffd
	v_add_co_ci_u32_e32 v39, vcc_lo, v19, v39, vcc_lo
	s_wait_alu 0xfffe
	v_mul_f64_e32 v[0:1], s[2:3], v[0:1]
	v_mul_f64_e32 v[2:3], s[2:3], v[2:3]
	;; [unrolled: 1-line block ×3, first 2 shown]
	v_add_co_u32 v16, vcc_lo, v38, s8
	s_wait_alu 0xfffd
	v_add_co_ci_u32_e32 v17, vcc_lo, s9, v39, vcc_lo
	s_wait_loadcnt 0x0
	v_mul_f64_e32 v[20:21], v[58:59], v[6:7]
	v_mul_f64_e32 v[22:23], v[58:59], v[4:5]
	scratch_load_b128 v[58:61], off, off offset:32 th:TH_LOAD_LU ; 16-byte Folded Reload
	v_fma_f64 v[4:5], v[56:57], v[4:5], v[20:21]
	v_fma_f64 v[20:21], v[116:117], v[66:67], -v[34:35]
	v_fma_f64 v[6:7], v[56:57], v[6:7], -v[22:23]
	s_delay_alu instid0(VALU_DEP_3) | instskip(NEXT) | instid1(VALU_DEP_3)
	v_mul_f64_e32 v[4:5], s[2:3], v[4:5]
	v_mul_f64_e32 v[20:21], s[2:3], v[20:21]
	s_delay_alu instid0(VALU_DEP_3)
	v_mul_f64_e32 v[6:7], s[2:3], v[6:7]
	s_wait_loadcnt 0x0
	v_mul_f64_e32 v[24:25], v[60:61], v[10:11]
	v_mul_f64_e32 v[26:27], v[60:61], v[8:9]
	scratch_load_b128 v[60:63], off, off offset:48 th:TH_LOAD_LU ; 16-byte Folded Reload
	ds_load_b128 v[80:83], v255 offset:2176
	ds_load_b128 v[84:87], v255 offset:2448
	;; [unrolled: 1-line block ×8, first 2 shown]
	s_clause 0x1
	scratch_load_b128 v[112:115], off, off offset:64 th:TH_LOAD_LU
	scratch_load_b128 v[118:121], off, off offset:96 th:TH_LOAD_LU
	v_fma_f64 v[8:9], v[58:59], v[8:9], v[24:25]
	v_fma_f64 v[10:11], v[58:59], v[10:11], -v[26:27]
	s_delay_alu instid0(VALU_DEP_2) | instskip(NEXT) | instid1(VALU_DEP_2)
	v_mul_f64_e32 v[8:9], s[2:3], v[8:9]
	v_mul_f64_e32 v[10:11], s[2:3], v[10:11]
	s_wait_loadcnt 0x2
	v_mul_f64_e32 v[28:29], v[62:63], v[14:15]
	v_mul_f64_e32 v[30:31], v[62:63], v[12:13]
	s_wait_loadcnt_dscnt 0x10a
	v_mul_f64_e32 v[42:43], v[114:115], v[70:71]
	s_wait_loadcnt_dscnt 0x9
	v_mul_f64_e32 v[46:47], v[120:121], v[74:75]
	v_mul_f64_e32 v[48:49], v[120:121], v[72:73]
	scratch_load_b128 v[120:123], off, off offset:112 th:TH_LOAD_LU ; 16-byte Folded Reload
	v_mul_f64_e32 v[44:45], v[114:115], v[68:69]
	scratch_load_b128 v[114:117], off, off offset:128 th:TH_LOAD_LU ; 16-byte Folded Reload
	v_fma_f64 v[12:13], v[60:61], v[12:13], v[28:29]
	v_fma_f64 v[14:15], v[60:61], v[14:15], -v[30:31]
	v_fma_f64 v[42:43], v[112:113], v[68:69], v[42:43]
	v_fma_f64 v[46:47], v[118:119], v[72:73], v[46:47]
	v_fma_f64 v[48:49], v[118:119], v[74:75], -v[48:49]
	v_add_co_u32 v68, vcc_lo, v16, s8
	v_fma_f64 v[44:45], v[112:113], v[70:71], -v[44:45]
	s_wait_alu 0xfffd
	v_add_co_ci_u32_e32 v69, vcc_lo, s9, v17, vcc_lo
	s_delay_alu instid0(VALU_DEP_3) | instskip(SKIP_1) | instid1(VALU_DEP_2)
	v_add_co_u32 v70, vcc_lo, v68, s8
	s_wait_alu 0xfffd
	v_add_co_ci_u32_e32 v71, vcc_lo, s9, v69, vcc_lo
	s_delay_alu instid0(VALU_DEP_2) | instskip(SKIP_1) | instid1(VALU_DEP_2)
	v_add_co_u32 v72, vcc_lo, v70, s8
	s_wait_alu 0xfffd
	v_add_co_ci_u32_e32 v73, vcc_lo, s9, v71, vcc_lo
	v_mul_f64_e32 v[12:13], s[2:3], v[12:13]
	v_mul_f64_e32 v[14:15], s[2:3], v[14:15]
	s_wait_loadcnt_dscnt 0x108
	v_mul_f64_e32 v[50:51], v[122:123], v[78:79]
	v_mul_f64_e32 v[52:53], v[122:123], v[76:77]
	scratch_load_b128 v[122:125], off, off offset:144 th:TH_LOAD_LU ; 16-byte Folded Reload
	s_wait_loadcnt_dscnt 0x107
	v_mul_f64_e32 v[22:23], v[116:117], v[82:83]
	v_mul_f64_e32 v[24:25], v[116:117], v[80:81]
	v_fma_f64 v[50:51], v[120:121], v[76:77], v[50:51]
	v_fma_f64 v[52:53], v[120:121], v[78:79], -v[52:53]
	s_delay_alu instid0(VALU_DEP_4) | instskip(NEXT) | instid1(VALU_DEP_4)
	v_fma_f64 v[22:23], v[114:115], v[80:81], v[22:23]
	v_fma_f64 v[24:25], v[114:115], v[82:83], -v[24:25]
	s_wait_loadcnt_dscnt 0x6
	v_mul_f64_e32 v[26:27], v[124:125], v[86:87]
	v_mul_f64_e32 v[28:29], v[124:125], v[84:85]
	scratch_load_b128 v[124:127], off, off offset:160 th:TH_LOAD_LU ; 16-byte Folded Reload
	v_fma_f64 v[26:27], v[122:123], v[84:85], v[26:27]
	v_fma_f64 v[28:29], v[122:123], v[86:87], -v[28:29]
	s_wait_loadcnt_dscnt 0x5
	v_mul_f64_e32 v[30:31], v[126:127], v[90:91]
	v_mul_f64_e32 v[32:33], v[126:127], v[88:89]
	scratch_load_b128 v[126:129], off, off offset:176 th:TH_LOAD_LU ; 16-byte Folded Reload
	;; [unrolled: 6-line block ×5, first 2 shown]
	v_fma_f64 v[60:61], v[130:131], v[100:101], v[60:61]
	s_wait_loadcnt_dscnt 0x1
	v_mul_f64_e32 v[36:37], v[134:135], v[106:107]
	v_mul_f64_e32 v[40:41], v[134:135], v[104:105]
	scratch_load_b128 v[134:137], off, off offset:240 th:TH_LOAD_LU ; 16-byte Folded Reload
	s_clause 0x4
	global_store_b128 v[38:39], v[0:3], off
	global_store_b128 v[16:17], v[4:7], off
	;; [unrolled: 1-line block ×5, first 2 shown]
	v_fma_f64 v[38:39], v[130:131], v[102:103], -v[62:63]
	v_mul_f64_e32 v[0:1], s[2:3], v[42:43]
	v_mul_f64_e32 v[2:3], s[2:3], v[44:45]
	;; [unrolled: 1-line block ×4, first 2 shown]
	v_add_co_u32 v44, vcc_lo, v72, s8
	s_wait_alu 0xfffd
	v_add_co_ci_u32_e32 v45, vcc_lo, s9, v73, vcc_lo
	v_mul_f64_e32 v[8:9], s[2:3], v[50:51]
	s_delay_alu instid0(VALU_DEP_3) | instskip(SKIP_1) | instid1(VALU_DEP_3)
	v_add_co_u32 v46, vcc_lo, v44, s8
	s_wait_alu 0xfffd
	v_add_co_ci_u32_e32 v47, vcc_lo, s9, v45, vcc_lo
	v_mul_f64_e32 v[10:11], s[2:3], v[52:53]
	s_delay_alu instid0(VALU_DEP_3) | instskip(SKIP_1) | instid1(VALU_DEP_3)
	v_add_co_u32 v48, vcc_lo, v46, s8
	s_wait_alu 0xfffd
	v_add_co_ci_u32_e32 v49, vcc_lo, s9, v47, vcc_lo
	v_mul_f64_e32 v[12:13], s[2:3], v[22:23]
	v_mul_f64_e32 v[14:15], s[2:3], v[24:25]
	;; [unrolled: 1-line block ×6, first 2 shown]
	v_add_co_u32 v50, vcc_lo, v48, s8
	v_mul_f64_e32 v[24:25], s[2:3], v[34:35]
	v_mul_f64_e32 v[26:27], s[2:3], v[54:55]
	;; [unrolled: 1-line block ×4, first 2 shown]
	s_wait_alu 0xfffd
	v_add_co_ci_u32_e32 v51, vcc_lo, s9, v49, vcc_lo
	v_mul_f64_e32 v[32:33], s[2:3], v[60:61]
	v_fma_f64 v[36:37], v[132:133], v[104:105], v[36:37]
	v_fma_f64 v[40:41], v[132:133], v[106:107], -v[40:41]
	v_add_co_u32 v52, vcc_lo, v50, s8
	v_mul_f64_e32 v[34:35], s[2:3], v[38:39]
	s_wait_alu 0xfffd
	v_add_co_ci_u32_e32 v53, vcc_lo, s9, v51, vcc_lo
	global_store_b128 v[44:45], v[0:3], off
	v_add_co_u32 v0, vcc_lo, v52, s8
	s_wait_alu 0xfffd
	v_add_co_ci_u32_e32 v1, vcc_lo, s9, v53, vcc_lo
	global_store_b128 v[46:47], v[4:7], off
	v_add_co_u32 v2, vcc_lo, v0, s8
	s_wait_alu 0xfffd
	v_add_co_ci_u32_e32 v3, vcc_lo, s9, v1, vcc_lo
	s_delay_alu instid0(VALU_DEP_2) | instskip(SKIP_1) | instid1(VALU_DEP_2)
	v_add_co_u32 v4, vcc_lo, v2, s8
	s_wait_alu 0xfffd
	v_add_co_ci_u32_e32 v5, vcc_lo, s9, v3, vcc_lo
	global_store_b128 v[48:49], v[8:11], off
	v_add_co_u32 v6, vcc_lo, v4, s8
	s_wait_alu 0xfffd
	v_add_co_ci_u32_e32 v7, vcc_lo, s9, v5, vcc_lo
	global_store_b128 v[50:51], v[12:15], off
	;; [unrolled: 4-line block ×3, first 2 shown]
	global_store_b128 v[0:1], v[20:23], off
	v_add_co_u32 v0, vcc_lo, v8, s8
	s_wait_alu 0xfffd
	v_add_co_ci_u32_e32 v1, vcc_lo, s9, v9, vcc_lo
	v_mul_f64_e32 v[36:37], s[2:3], v[36:37]
	v_mul_f64_e32 v[38:39], s[2:3], v[40:41]
	s_wait_loadcnt_dscnt 0x0
	v_mul_f64_e32 v[64:65], v[136:137], v[110:111]
	v_mul_f64_e32 v[66:67], v[136:137], v[108:109]
	s_delay_alu instid0(VALU_DEP_2) | instskip(NEXT) | instid1(VALU_DEP_2)
	v_fma_f64 v[62:63], v[134:135], v[108:109], v[64:65]
	v_fma_f64 v[64:65], v[134:135], v[110:111], -v[66:67]
	s_delay_alu instid0(VALU_DEP_2) | instskip(NEXT) | instid1(VALU_DEP_2)
	v_mul_f64_e32 v[40:41], s[2:3], v[62:63]
	v_mul_f64_e32 v[42:43], s[2:3], v[64:65]
	global_store_b128 v[2:3], v[24:27], off
	global_store_b128 v[4:5], v[28:31], off
	;; [unrolled: 1-line block ×5, first 2 shown]
.LBB0_10:
	s_nop 0
	s_sendmsg sendmsg(MSG_DEALLOC_VGPRS)
	s_endpgm
	.section	.rodata,"a",@progbits
	.p2align	6, 0x0
	.amdhsa_kernel bluestein_single_fwd_len272_dim1_dp_op_CI_CI
		.amdhsa_group_segment_fixed_size 30464
		.amdhsa_private_segment_fixed_size 484
		.amdhsa_kernarg_size 104
		.amdhsa_user_sgpr_count 2
		.amdhsa_user_sgpr_dispatch_ptr 0
		.amdhsa_user_sgpr_queue_ptr 0
		.amdhsa_user_sgpr_kernarg_segment_ptr 1
		.amdhsa_user_sgpr_dispatch_id 0
		.amdhsa_user_sgpr_private_segment_size 0
		.amdhsa_wavefront_size32 1
		.amdhsa_uses_dynamic_stack 0
		.amdhsa_enable_private_segment 1
		.amdhsa_system_sgpr_workgroup_id_x 1
		.amdhsa_system_sgpr_workgroup_id_y 0
		.amdhsa_system_sgpr_workgroup_id_z 0
		.amdhsa_system_sgpr_workgroup_info 0
		.amdhsa_system_vgpr_workitem_id 0
		.amdhsa_next_free_vgpr 256
		.amdhsa_next_free_sgpr 58
		.amdhsa_reserve_vcc 1
		.amdhsa_float_round_mode_32 0
		.amdhsa_float_round_mode_16_64 0
		.amdhsa_float_denorm_mode_32 3
		.amdhsa_float_denorm_mode_16_64 3
		.amdhsa_fp16_overflow 0
		.amdhsa_workgroup_processor_mode 1
		.amdhsa_memory_ordered 1
		.amdhsa_forward_progress 0
		.amdhsa_round_robin_scheduling 0
		.amdhsa_exception_fp_ieee_invalid_op 0
		.amdhsa_exception_fp_denorm_src 0
		.amdhsa_exception_fp_ieee_div_zero 0
		.amdhsa_exception_fp_ieee_overflow 0
		.amdhsa_exception_fp_ieee_underflow 0
		.amdhsa_exception_fp_ieee_inexact 0
		.amdhsa_exception_int_div_zero 0
	.end_amdhsa_kernel
	.text
.Lfunc_end0:
	.size	bluestein_single_fwd_len272_dim1_dp_op_CI_CI, .Lfunc_end0-bluestein_single_fwd_len272_dim1_dp_op_CI_CI
                                        ; -- End function
	.section	.AMDGPU.csdata,"",@progbits
; Kernel info:
; codeLenInByte = 19208
; NumSgprs: 60
; NumVgprs: 256
; ScratchSize: 484
; MemoryBound: 0
; FloatMode: 240
; IeeeMode: 1
; LDSByteSize: 30464 bytes/workgroup (compile time only)
; SGPRBlocks: 7
; VGPRBlocks: 31
; NumSGPRsForWavesPerEU: 60
; NumVGPRsForWavesPerEU: 256
; Occupancy: 4
; WaveLimiterHint : 1
; COMPUTE_PGM_RSRC2:SCRATCH_EN: 1
; COMPUTE_PGM_RSRC2:USER_SGPR: 2
; COMPUTE_PGM_RSRC2:TRAP_HANDLER: 0
; COMPUTE_PGM_RSRC2:TGID_X_EN: 1
; COMPUTE_PGM_RSRC2:TGID_Y_EN: 0
; COMPUTE_PGM_RSRC2:TGID_Z_EN: 0
; COMPUTE_PGM_RSRC2:TIDIG_COMP_CNT: 0
	.text
	.p2alignl 7, 3214868480
	.fill 96, 4, 3214868480
	.type	__hip_cuid_975e3f030a3b855f,@object ; @__hip_cuid_975e3f030a3b855f
	.section	.bss,"aw",@nobits
	.globl	__hip_cuid_975e3f030a3b855f
__hip_cuid_975e3f030a3b855f:
	.byte	0                               ; 0x0
	.size	__hip_cuid_975e3f030a3b855f, 1

	.ident	"AMD clang version 19.0.0git (https://github.com/RadeonOpenCompute/llvm-project roc-6.4.0 25133 c7fe45cf4b819c5991fe208aaa96edf142730f1d)"
	.section	".note.GNU-stack","",@progbits
	.addrsig
	.addrsig_sym __hip_cuid_975e3f030a3b855f
	.amdgpu_metadata
---
amdhsa.kernels:
  - .args:
      - .actual_access:  read_only
        .address_space:  global
        .offset:         0
        .size:           8
        .value_kind:     global_buffer
      - .actual_access:  read_only
        .address_space:  global
        .offset:         8
        .size:           8
        .value_kind:     global_buffer
      - .actual_access:  read_only
        .address_space:  global
        .offset:         16
        .size:           8
        .value_kind:     global_buffer
      - .actual_access:  read_only
        .address_space:  global
        .offset:         24
        .size:           8
        .value_kind:     global_buffer
      - .actual_access:  read_only
        .address_space:  global
        .offset:         32
        .size:           8
        .value_kind:     global_buffer
      - .offset:         40
        .size:           8
        .value_kind:     by_value
      - .address_space:  global
        .offset:         48
        .size:           8
        .value_kind:     global_buffer
      - .address_space:  global
        .offset:         56
        .size:           8
        .value_kind:     global_buffer
      - .address_space:  global
        .offset:         64
        .size:           8
        .value_kind:     global_buffer
      - .address_space:  global
        .offset:         72
        .size:           8
        .value_kind:     global_buffer
      - .offset:         80
        .size:           4
        .value_kind:     by_value
      - .address_space:  global
        .offset:         88
        .size:           8
        .value_kind:     global_buffer
      - .address_space:  global
        .offset:         96
        .size:           8
        .value_kind:     global_buffer
    .group_segment_fixed_size: 30464
    .kernarg_segment_align: 8
    .kernarg_segment_size: 104
    .language:       OpenCL C
    .language_version:
      - 2
      - 0
    .max_flat_workgroup_size: 119
    .name:           bluestein_single_fwd_len272_dim1_dp_op_CI_CI
    .private_segment_fixed_size: 484
    .sgpr_count:     60
    .sgpr_spill_count: 0
    .symbol:         bluestein_single_fwd_len272_dim1_dp_op_CI_CI.kd
    .uniform_work_group_size: 1
    .uses_dynamic_stack: false
    .vgpr_count:     256
    .vgpr_spill_count: 120
    .wavefront_size: 32
    .workgroup_processor_mode: 1
amdhsa.target:   amdgcn-amd-amdhsa--gfx1201
amdhsa.version:
  - 1
  - 2
...

	.end_amdgpu_metadata
